;; amdgpu-corpus repo=ROCm/rocFFT kind=compiled arch=gfx1100 opt=O3
	.text
	.amdgcn_target "amdgcn-amd-amdhsa--gfx1100"
	.amdhsa_code_object_version 6
	.protected	bluestein_single_fwd_len2160_dim1_half_op_CI_CI ; -- Begin function bluestein_single_fwd_len2160_dim1_half_op_CI_CI
	.globl	bluestein_single_fwd_len2160_dim1_half_op_CI_CI
	.p2align	8
	.type	bluestein_single_fwd_len2160_dim1_half_op_CI_CI,@function
bluestein_single_fwd_len2160_dim1_half_op_CI_CI: ; @bluestein_single_fwd_len2160_dim1_half_op_CI_CI
; %bb.0:
	s_load_b128 s[8:11], s[0:1], 0x28
	v_mul_u32_u24_e32 v1, 0x445, v0
	s_mov_b32 s2, exec_lo
	v_mov_b32_e32 v75, 0
	s_delay_alu instid0(VALU_DEP_2) | instskip(NEXT) | instid1(VALU_DEP_1)
	v_lshrrev_b32_e32 v1, 16, v1
	v_add_nc_u32_e32 v74, s15, v1
	s_waitcnt lgkmcnt(0)
	s_delay_alu instid0(VALU_DEP_1)
	v_cmpx_gt_u64_e64 s[8:9], v[74:75]
	s_cbranch_execz .LBB0_15
; %bb.1:
	s_clause 0x1
	s_load_b128 s[4:7], s[0:1], 0x18
	s_load_b64 s[8:9], s[0:1], 0x0
	v_mul_lo_u16 v1, v1, 60
	s_delay_alu instid0(VALU_DEP_1) | instskip(NEXT) | instid1(VALU_DEP_1)
	v_sub_nc_u16 v2, v0, v1
	v_and_b32_e32 v174, 0xffff, v2
	s_delay_alu instid0(VALU_DEP_1)
	v_or_b32_e32 v14, 0x6c0, v174
	s_waitcnt lgkmcnt(0)
	s_load_b128 s[12:15], s[4:5], 0x0
	s_waitcnt lgkmcnt(0)
	v_mad_u64_u32 v[0:1], null, s14, v74, 0
	v_mad_u64_u32 v[5:6], null, s12, v14, 0
	s_mul_i32 s3, s13, 0xd8
	s_mul_hi_u32 s4, s12, 0xd8
	s_delay_alu instid0(SALU_CYCLE_1) | instskip(NEXT) | instid1(VALU_DEP_2)
	s_add_i32 s3, s4, s3
	v_mad_u64_u32 v[7:8], null, s15, v74, v[1:2]
	s_delay_alu instid0(VALU_DEP_2) | instskip(SKIP_3) | instid1(VALU_DEP_1)
	v_mov_b32_e32 v1, v6
	v_mad_u64_u32 v[3:4], null, s12, v174, 0
	v_or_b32_e32 v13, 0x300, v174
	s_mul_i32 s4, s13, 0x6c0
	v_mad_u64_u32 v[8:9], null, s12, v13, 0
	s_delay_alu instid0(VALU_DEP_3) | instskip(SKIP_2) | instid1(VALU_DEP_4)
	v_mad_u64_u32 v[10:11], null, s13, v174, v[4:5]
	v_lshlrev_b32_e32 v115, 2, v174
	v_mad_u64_u32 v[11:12], null, s13, v14, v[1:2]
	v_dual_mov_b32 v1, v7 :: v_dual_mov_b32 v6, v9
	s_delay_alu instid0(VALU_DEP_3) | instskip(NEXT) | instid1(VALU_DEP_1)
	v_add_co_u32 v72, s2, s8, v115
	v_add_co_ci_u32_e64 v73, null, s9, 0, s2
	v_dual_mov_b32 v4, v10 :: v_dual_lshlrev_b32 v85, 2, v14
	s_delay_alu instid0(VALU_DEP_4) | instskip(NEXT) | instid1(VALU_DEP_4)
	v_lshlrev_b64 v[0:1], 2, v[0:1]
	v_add_co_u32 v68, vcc_lo, 0x1000, v72
	v_mad_u64_u32 v[9:10], null, s13, v13, v[6:7]
	v_mov_b32_e32 v6, v11
	v_add_co_ci_u32_e32 v69, vcc_lo, 0, v73, vcc_lo
	v_lshlrev_b64 v[3:4], 2, v[3:4]
	v_add_co_u32 v10, vcc_lo, s10, v0
	v_add_co_ci_u32_e32 v11, vcc_lo, s11, v1, vcc_lo
	v_lshlrev_b64 v[0:1], 2, v[5:6]
	s_delay_alu instid0(VALU_DEP_3) | instskip(SKIP_1) | instid1(VALU_DEP_3)
	v_add_co_u32 v3, vcc_lo, v10, v3
	s_mul_i32 s2, s12, 0xd8
	v_add_co_ci_u32_e32 v4, vcc_lo, v11, v4, vcc_lo
	s_delay_alu instid0(VALU_DEP_3)
	v_add_co_u32 v0, vcc_lo, v10, v0
	s_lshl_b64 s[16:17], s[2:3], 2
	v_add_co_ci_u32_e32 v1, vcc_lo, v11, v1, vcc_lo
	v_add_co_u32 v5, vcc_lo, v3, s16
	v_lshlrev_b64 v[7:8], 2, v[8:9]
	v_add_co_ci_u32_e32 v6, vcc_lo, s17, v4, vcc_lo
	v_add_co_u32 v12, vcc_lo, 0x2000, v72
	s_clause 0x11
	global_load_b32 v167, v115, s[8:9] offset:3456
	global_load_b32 v176, v115, s[8:9]
	global_load_b32 v93, v115, s[8:9] offset:240
	global_load_b32 v173, v115, s[8:9] offset:864
	;; [unrolled: 1-line block ×8, first 2 shown]
	global_load_b32 v163, v85, s[8:9]
	global_load_b32 v90, v[68:69], off offset:3680
	global_load_b32 v164, v[68:69], off offset:224
	;; [unrolled: 1-line block ×7, first 2 shown]
	s_clause 0x1
	scratch_store_b32 off, v14, off offset:180
	scratch_store_b32 off, v13, off offset:164
	v_add_co_ci_u32_e32 v13, vcc_lo, 0, v73, vcc_lo
	v_add_co_u32 v7, vcc_lo, v10, v7
	v_add_co_ci_u32_e32 v8, vcc_lo, v11, v8, vcc_lo
	s_clause 0x8
	global_load_b32 v67, v115, s[8:9] offset:480
	global_load_b32 v88, v115, s[8:9] offset:3696
	;; [unrolled: 1-line block ×5, first 2 shown]
	global_load_b32 v160, v[68:69], off offset:1952
	global_load_b32 v56, v[68:69], off offset:1568
	;; [unrolled: 1-line block ×4, first 2 shown]
	scratch_store_b64 off, v[12:13], off    ; 8-byte Folded Spill
	s_clause 0x2
	global_load_b32 v50, v[12:13], off offset:64
	global_load_b32 v52, v[68:69], off offset:3296
	;; [unrolled: 1-line block ×3, first 2 shown]
	s_clause 0x3
	global_load_b32 v9, v[3:4], off
	global_load_b32 v10, v[0:1], off
	;; [unrolled: 1-line block ×4, first 2 shown]
	v_add_co_u32 v0, vcc_lo, v5, s16
	v_add_co_ci_u32_e32 v1, vcc_lo, s17, v6, vcc_lo
	s_mul_hi_u32 s2, s12, 0xfffff8a4
	s_delay_alu instid0(VALU_DEP_2) | instskip(NEXT) | instid1(VALU_DEP_2)
	v_add_co_u32 v3, vcc_lo, v0, s16
	v_add_co_ci_u32_e32 v4, vcc_lo, s17, v1, vcc_lo
	global_load_b32 v13, v[0:1], off
	s_mul_i32 s3, s13, 0xfffff8a4
	s_sub_i32 s2, s2, s12
	global_load_b32 v14, v[3:4], off
	v_add_co_u32 v0, vcc_lo, v3, s16
	v_add_co_ci_u32_e32 v1, vcc_lo, s17, v4, vcc_lo
	s_add_i32 s3, s2, s3
	s_delay_alu instid0(VALU_DEP_2) | instskip(NEXT) | instid1(VALU_DEP_2)
	v_add_co_u32 v5, vcc_lo, v0, s16
	v_add_co_ci_u32_e32 v6, vcc_lo, s17, v1, vcc_lo
	global_load_b32 v15, v[0:1], off
	v_add_co_u32 v3, vcc_lo, v5, s16
	v_add_co_ci_u32_e32 v4, vcc_lo, s17, v6, vcc_lo
	global_load_b32 v16, v[5:6], off
	v_add_co_u32 v0, vcc_lo, v3, s16
	v_add_co_ci_u32_e32 v1, vcc_lo, s17, v4, vcc_lo
	s_mul_i32 s2, s12, 0xfffff8a4
	global_load_b32 v17, v[3:4], off
	s_lshl_b64 s[2:3], s[2:3], 2
	v_mad_u64_u32 v[5:6], null, 0x6c0, s12, v[0:1]
	global_load_b32 v18, v[0:1], off
	v_add_nc_u32_e32 v39, 0x600, v115
	v_add_nc_u32_e32 v8, 0xc00, v115
	;; [unrolled: 1-line block ×5, first 2 shown]
	v_add_co_u32 v0, vcc_lo, v5, s2
	s_delay_alu instid0(VALU_DEP_2) | instskip(SKIP_4) | instid1(VALU_DEP_2)
	v_add_co_ci_u32_e32 v1, vcc_lo, s3, v6, vcc_lo
	global_load_b32 v19, v[5:6], off
	global_load_b32 v20, v[0:1], off
	v_add_co_u32 v0, vcc_lo, v0, s16
	v_add_co_ci_u32_e32 v1, vcc_lo, s17, v1, vcc_lo
	v_add_co_u32 v3, vcc_lo, v0, s16
	s_delay_alu instid0(VALU_DEP_2) | instskip(SKIP_4) | instid1(VALU_DEP_2)
	v_add_co_ci_u32_e32 v4, vcc_lo, s17, v1, vcc_lo
	global_load_b32 v21, v[0:1], off
	global_load_b32 v22, v[3:4], off
	v_add_co_u32 v0, vcc_lo, v3, s16
	v_add_co_ci_u32_e32 v1, vcc_lo, s17, v4, vcc_lo
	v_add_co_u32 v3, vcc_lo, v0, s16
	s_delay_alu instid0(VALU_DEP_2)
	v_add_co_ci_u32_e32 v4, vcc_lo, s17, v1, vcc_lo
	global_load_b32 v23, v[0:1], off
	v_add_co_u32 v0, vcc_lo, v3, s16
	v_add_co_ci_u32_e32 v1, vcc_lo, s17, v4, vcc_lo
	global_load_b32 v24, v[3:4], off
	v_add_co_u32 v3, vcc_lo, v0, s16
	v_add_co_ci_u32_e32 v4, vcc_lo, s17, v1, vcc_lo
	global_load_b32 v25, v[0:1], off
	global_load_b32 v26, v[3:4], off
	v_add_co_u32 v0, vcc_lo, v3, s16
	v_add_co_ci_u32_e32 v1, vcc_lo, s17, v4, vcc_lo
	s_delay_alu instid0(VALU_DEP_2) | instskip(NEXT) | instid1(VALU_DEP_2)
	v_add_co_u32 v3, vcc_lo, v0, s16
	v_add_co_ci_u32_e32 v4, vcc_lo, s17, v1, vcc_lo
	global_load_b32 v27, v[0:1], off
	v_add_co_u32 v0, vcc_lo, v3, s16
	v_add_co_ci_u32_e32 v1, vcc_lo, s17, v4, vcc_lo
	global_load_b32 v28, v[3:4], off
	;; [unrolled: 3-line block ×4, first 2 shown]
	global_load_b32 v31, v[0:1], off
	v_add_co_u32 v5, vcc_lo, v0, s16
	v_add_co_ci_u32_e32 v6, vcc_lo, s17, v1, vcc_lo
	s_delay_alu instid0(VALU_DEP_1) | instskip(SKIP_3) | instid1(VALU_DEP_2)
	v_mad_u64_u32 v[0:1], null, 0x6c0, s12, v[5:6]
	global_load_b32 v32, v[5:6], off
	v_add_nc_u32_e32 v1, s4, v1
	v_add_co_u32 v3, vcc_lo, v0, s16
	v_add_co_ci_u32_e32 v4, vcc_lo, s17, v1, vcc_lo
	global_load_b32 v33, v[0:1], off
	global_load_b32 v34, v[3:4], off
	v_add_co_u32 v0, vcc_lo, v3, s16
	v_add_co_ci_u32_e32 v1, vcc_lo, s17, v4, vcc_lo
	s_delay_alu instid0(VALU_DEP_2) | instskip(NEXT) | instid1(VALU_DEP_2)
	v_add_co_u32 v3, vcc_lo, v0, s16
	v_add_co_ci_u32_e32 v4, vcc_lo, s17, v1, vcc_lo
	global_load_b32 v35, v[0:1], off
	v_add_co_u32 v5, vcc_lo, v3, s16
	v_add_co_ci_u32_e32 v6, vcc_lo, s17, v4, vcc_lo
	global_load_b32 v36, v[3:4], off
	;; [unrolled: 3-line block ×3, first 2 shown]
	global_load_b32 v38, v[0:1], off
	s_load_b64 s[4:5], s[0:1], 0x38
	s_load_b128 s[12:15], s[6:7], 0x0
	v_add_nc_u32_e32 v4, 0xa00, v115
	v_add_nc_u32_e32 v3, 0x400, v115
	;; [unrolled: 1-line block ×4, first 2 shown]
	v_cmp_gt_u16_e32 vcc_lo, 36, v2
	s_waitcnt vmcnt(53)
	v_lshrrev_b32_e32 v102, 16, v169
	s_waitcnt vmcnt(52)
	v_lshrrev_b32_e32 v87, 16, v81
	v_lshrrev_b32_e32 v47, 16, v176
	s_waitcnt vmcnt(51)
	v_lshrrev_b32_e32 v103, 16, v172
	s_waitcnt vmcnt(49)
	v_lshrrev_b32_e32 v49, 16, v163
	v_lshrrev_b32_e32 v104, 16, v173
	;; [unrolled: 1-line block ×3, first 2 shown]
	s_waitcnt vmcnt(47)
	v_lshrrev_b32_e32 v100, 16, v164
	s_waitcnt vmcnt(45)
	v_lshrrev_b32_e32 v99, 16, v162
	v_lshrrev_b32_e32 v95, 16, v90
	;; [unrolled: 1-line block ×6, first 2 shown]
	scratch_store_b32 off, v95, off offset:168 ; 4-byte Folded Spill
	s_waitcnt vmcnt(40)
	v_lshrrev_b32_e32 v94, 16, v88
	v_lshrrev_b32_e32 v89, 16, v83
	s_waitcnt vmcnt(38)
	v_lshrrev_b32_e32 v70, 16, v61
	scratch_store_b32 off, v61, off offset:52 ; 4-byte Folded Spill
	s_waitcnt vmcnt(36)
	v_lshrrev_b32_e32 v98, 16, v160
	s_waitcnt vmcnt(29)
	v_lshrrev_b32_e32 v41, 16, v9
	v_mul_f16_e32 v42, v47, v9
	s_waitcnt vmcnt(28)
	v_lshrrev_b32_e32 v43, 16, v10
	v_mul_f16_e32 v44, v49, v10
	;; [unrolled: 3-line block ×3, first 2 shown]
	v_mul_f16_e32 v47, v47, v41
	v_fma_f16 v41, v176, v41, -v42
	s_waitcnt vmcnt(26)
	v_lshrrev_b32_e32 v42, 16, v12
	v_mul_f16_e32 v48, v104, v12
	v_mul_f16_e32 v49, v49, v43
	v_fma_f16 v43, v163, v43, -v44
	v_mul_f16_e32 v44, v70, v45
	v_fma_f16 v45, v61, v45, -v46
	v_fmac_f16_e64 v47, v176, v9
	v_mul_f16_e32 v9, v104, v42
	s_waitcnt vmcnt(25)
	v_lshrrev_b32_e32 v46, 16, v13
	v_fma_f16 v42, v173, v42, -v48
	v_mul_f16_e32 v48, v103, v13
	v_fmac_f16_e64 v49, v163, v10
	v_fmac_f16_e32 v44, v61, v11
	v_pack_b32_f16 v10, v47, v41
	v_fmac_f16_e64 v9, v173, v12
	v_mul_f16_e32 v11, v103, v46
	s_waitcnt vmcnt(24)
	v_lshrrev_b32_e32 v41, 16, v14
	v_fma_f16 v12, v172, v46, -v48
	v_mul_f16_e32 v46, v102, v14
	v_pack_b32_f16 v44, v44, v45
	v_pack_b32_f16 v9, v9, v42
	v_fmac_f16_e64 v11, v172, v13
	v_mul_f16_e32 v13, v102, v41
	s_waitcnt vmcnt(23)
	v_lshrrev_b32_e32 v42, 16, v15
	v_mul_f16_e32 v45, v101, v15
	v_fma_f16 v41, v169, v41, -v46
	v_pack_b32_f16 v11, v11, v12
	v_fmac_f16_e64 v13, v169, v14
	v_mul_f16_e32 v12, v101, v42
	s_waitcnt vmcnt(22)
	v_lshrrev_b32_e32 v14, 16, v16
	v_fma_f16 v42, v167, v42, -v45
	v_mul_f16_e32 v45, v100, v16
	v_pack_b32_f16 v13, v13, v41
	v_fmac_f16_e64 v12, v167, v15
	v_mul_f16_e32 v15, v100, v14
	s_waitcnt vmcnt(21)
	v_lshrrev_b32_e32 v41, 16, v17
	v_fma_f16 v14, v164, v14, -v45
	s_waitcnt vmcnt(20)
	v_lshrrev_b32_e32 v45, 16, v18
	v_mul_f16_e32 v46, v99, v17
	v_pack_b32_f16 v12, v12, v42
	v_mul_f16_e32 v42, v99, v41
	v_mul_f16_e32 v47, v98, v18
	;; [unrolled: 1-line block ×3, first 2 shown]
	v_fmac_f16_e64 v15, v164, v16
	v_fma_f16 v16, v162, v41, -v46
	v_fmac_f16_e64 v42, v162, v17
	v_fma_f16 v17, v160, v45, -v47
	v_fmac_f16_e64 v48, v160, v18
	s_waitcnt vmcnt(19)
	v_lshrrev_b32_e32 v18, 16, v19
	v_mul_f16_e32 v41, v95, v19
	v_pack_b32_f16 v14, v15, v14
	v_pack_b32_f16 v15, v42, v16
	;; [unrolled: 1-line block ×3, first 2 shown]
	v_mul_f16_e32 v17, v95, v18
	v_fma_f16 v18, v90, v18, -v41
	s_waitcnt vmcnt(18)
	v_lshrrev_b32_e32 v41, 16, v20
	scratch_store_b32 off, v70, off offset:80 ; 4-byte Folded Spill
	v_pack_b32_f16 v43, v49, v43
	v_mul_f16_e32 v42, v97, v20
	ds_store_b32 v115, v9 offset:864
	ds_store_b32 v115, v11 offset:1728
	;; [unrolled: 1-line block ×8, first 2 shown]
	v_fmac_f16_e32 v17, v90, v19
	v_mul_f16_e32 v9, v97, v41
	s_waitcnt vmcnt(17)
	v_lshrrev_b32_e32 v11, 16, v21
	v_mul_f16_e32 v12, v92, v21
	v_fma_f16 v13, v93, v41, -v42
	v_pack_b32_f16 v14, v17, v18
	v_fmac_f16_e32 v9, v93, v20
	v_mul_f16_e32 v15, v92, v11
	v_fma_f16 v11, v86, v11, -v12
	s_waitcnt vmcnt(16)
	v_lshrrev_b32_e32 v12, 16, v22
	v_mul_f16_e32 v16, v96, v22
	ds_store_b32 v115, v14 offset:7776
	v_pack_b32_f16 v9, v9, v13
	v_fmac_f16_e32 v15, v86, v21
	v_mul_f16_e32 v13, v96, v12
	s_waitcnt vmcnt(15)
	v_lshrrev_b32_e32 v14, 16, v23
	v_fma_f16 v12, v91, v12, -v16
	v_mul_f16_e32 v16, v87, v23
	ds_store_2addr_b32 v115, v10, v9 offset1:60
	v_pack_b32_f16 v9, v15, v11
	v_fmac_f16_e32 v13, v91, v22
	v_mul_f16_e32 v10, v87, v14
	s_waitcnt vmcnt(14)
	v_lshrrev_b32_e32 v11, 16, v24
	v_fma_f16 v14, v81, v14, -v16
	v_mul_f16_e32 v15, v94, v24
	v_pack_b32_f16 v12, v13, v12
	v_fmac_f16_e32 v10, v81, v23
	v_mul_f16_e32 v13, v94, v11
	s_waitcnt vmcnt(13)
	v_lshrrev_b32_e32 v16, 16, v25
	v_fma_f16 v11, v88, v11, -v15
	v_mul_f16_e32 v15, v82, v25
	v_pack_b32_f16 v10, v10, v14
	v_fmac_f16_e32 v13, v88, v24
	v_mul_f16_e32 v14, v82, v16
	s_waitcnt vmcnt(12)
	v_lshrrev_b32_e32 v17, 16, v26
	v_lshrrev_b32_e32 v79, 16, v66
	v_mul_f16_e32 v18, v89, v26
	v_fma_f16 v15, v77, v16, -v15
	v_pack_b32_f16 v11, v13, v11
	v_fmac_f16_e32 v14, v77, v25
	v_mul_f16_e32 v13, v89, v17
	v_lshrrev_b32_e32 v84, 16, v78
	v_fma_f16 v16, v83, v17, -v18
	s_waitcnt vmcnt(11)
	v_lshrrev_b32_e32 v17, 16, v27
	v_mul_f16_e32 v18, v79, v27
	ds_store_2addr_b32 v4, v10, v44 offset0:68 offset1:128
	v_pack_b32_f16 v10, v14, v15
	v_fmac_f16_e32 v13, v83, v26
	s_waitcnt vmcnt(10)
	v_lshrrev_b32_e32 v15, 16, v28
	v_lshrrev_b32_e32 v71, 16, v65
	v_mul_f16_e32 v14, v79, v17
	v_fma_f16 v17, v66, v17, -v18
	v_mul_f16_e32 v18, v84, v28
	v_pack_b32_f16 v13, v13, v16
	v_mul_f16_e32 v16, v84, v15
	v_lshrrev_b32_e32 v80, 16, v67
	v_fmac_f16_e32 v14, v66, v27
	s_waitcnt vmcnt(9)
	v_lshrrev_b32_e32 v19, 16, v29
	v_mul_f16_e32 v20, v71, v29
	v_fma_f16 v15, v78, v15, -v18
	v_fmac_f16_e32 v16, v78, v28
	v_lshrrev_b32_e32 v76, 16, v64
	v_pack_b32_f16 v14, v14, v17
	v_mul_f16_e32 v17, v71, v19
	v_fma_f16 v18, v65, v19, -v20
	s_waitcnt vmcnt(8)
	v_lshrrev_b32_e32 v19, 16, v30
	v_mul_f16_e32 v20, v80, v30
	v_pack_b32_f16 v15, v16, v15
	s_waitcnt vmcnt(7)
	v_lshrrev_b32_e32 v16, 16, v31
	v_mul_f16_e32 v22, v76, v31
	v_mul_f16_e32 v21, v80, v19
	v_fma_f16 v19, v67, v19, -v20
	v_lshrrev_b32_e32 v75, 16, v62
	v_mul_f16_e32 v20, v76, v16
	s_waitcnt vmcnt(6)
	v_lshrrev_b32_e32 v23, 16, v32
	v_fmac_f16_e32 v17, v65, v29
	v_fmac_f16_e32 v21, v67, v30
	v_fma_f16 v16, v64, v16, -v22
	v_fmac_f16_e32 v20, v64, v31
	v_mul_f16_e32 v22, v75, v32
	v_mul_f16_e32 v24, v75, v23
	v_lshrrev_b32_e32 v63, 16, v58
	v_pack_b32_f16 v17, v17, v18
	v_pack_b32_f16 v18, v21, v19
	;; [unrolled: 1-line block ×3, first 2 shown]
	s_waitcnt vmcnt(5)
	v_lshrrev_b32_e32 v20, 16, v33
	v_fma_f16 v19, v62, v23, -v22
	v_fmac_f16_e32 v24, v62, v32
	ds_store_b32 v115, v18 offset:480
	v_mul_f16_e32 v18, v63, v33
	ds_store_2addr_b32 v3, v9, v16 offset0:20 offset1:80
	v_mul_f16_e32 v16, v63, v20
	v_lshrrev_b32_e32 v60, 16, v57
	v_pack_b32_f16 v9, v24, v19
	s_waitcnt vmcnt(4)
	v_lshrrev_b32_e32 v19, 16, v34
	v_lshrrev_b32_e32 v59, 16, v56
	v_fma_f16 v18, v58, v20, -v18
	v_fmac_f16_e32 v16, v58, v33
	v_mul_f16_e32 v20, v60, v34
	ds_store_2addr_b32 v39, v12, v9 offset0:108 offset1:168
	v_mul_f16_e32 v9, v60, v19
	v_lshrrev_b32_e32 v55, 16, v54
	s_waitcnt vmcnt(3)
	v_lshrrev_b32_e32 v12, 16, v35
	v_mul_f16_e32 v21, v59, v35
	v_pack_b32_f16 v16, v16, v18
	v_fma_f16 v19, v57, v19, -v20
	v_fmac_f16_e32 v9, v57, v34
	s_waitcnt vmcnt(2)
	v_lshrrev_b32_e32 v20, 16, v36
	v_lshrrev_b32_e32 v53, 16, v52
	v_mul_f16_e32 v18, v59, v12
	v_fma_f16 v12, v56, v12, -v21
	v_mul_f16_e32 v21, v55, v36
	ds_store_2addr_b32 v8, v11, v16 offset0:156 offset1:216
	s_waitcnt vmcnt(1)
	v_lshrrev_b32_e32 v11, 16, v37
	v_lshrrev_b32_e32 v51, 16, v50
	v_pack_b32_f16 v9, v9, v19
	s_waitcnt vmcnt(0)
	v_lshrrev_b32_e32 v19, 16, v38
	v_mul_f16_e32 v16, v55, v20
	v_fma_f16 v20, v54, v20, -v21
	v_mul_f16_e32 v21, v53, v37
	v_mul_f16_e32 v22, v53, v11
	;; [unrolled: 1-line block ×4, first 2 shown]
	v_fmac_f16_e32 v18, v56, v35
	v_fmac_f16_e32 v16, v54, v36
	v_fma_f16 v11, v52, v11, -v21
	v_fmac_f16_e32 v22, v52, v37
	v_fma_f16 v19, v50, v19, -v23
	v_fmac_f16_e32 v24, v50, v38
	ds_store_2addr_b32 v5, v10, v9 offset0:116 offset1:176
	v_pack_b32_f16 v10, v18, v12
	v_add_nc_u32_e32 v9, 0x1e00, v115
	v_pack_b32_f16 v12, v16, v20
	v_pack_b32_f16 v11, v22, v11
	;; [unrolled: 1-line block ×3, first 2 shown]
	s_clause 0x1f
	scratch_store_b32 off, v90, off offset:144
	scratch_store_b32 off, v91, off offset:148
	;; [unrolled: 1-line block ×32, first 2 shown]
	s_clause 0x6
	scratch_store_b32 off, v52, off offset:16
	scratch_store_b32 off, v53, off offset:20
	scratch_store_b32 off, v54, off offset:24
	scratch_store_b32 off, v57, off offset:36
	scratch_store_b32 off, v56, off offset:32
	scratch_store_b32 off, v55, off offset:28
	scratch_store_b32 off, v50, off offset:8
	ds_store_2addr_b32 v7, v13, v10 offset0:76 offset1:136
	ds_store_2addr_b32 v6, v14, v12 offset0:36 offset1:96
	;; [unrolled: 1-line block ×4, first 2 shown]
	s_and_saveexec_b32 s6, vcc_lo
	s_cbranch_execz .LBB0_3
; %bb.2:
	v_add_co_u32 v0, s2, v0, s2
	s_delay_alu instid0(VALU_DEP_1) | instskip(SKIP_1) | instid1(VALU_DEP_3)
	v_add_co_ci_u32_e64 v1, s2, s3, v1, s2
	v_add_nc_u32_e32 v29, 0x1700, v115
	v_add_co_u32 v10, s2, v0, s16
	s_delay_alu instid0(VALU_DEP_1)
	v_add_co_ci_u32_e64 v11, s2, s17, v1, s2
	global_load_b32 v2, v[0:1], off
	global_load_b32 v12, v[10:11], off
	s_clause 0x8
	global_load_b32 v13, v[72:73], off offset:720
	global_load_b32 v14, v[72:73], off offset:1584
	;; [unrolled: 1-line block ×9, first 2 shown]
	v_add_co_u32 v0, s2, v10, s16
	s_delay_alu instid0(VALU_DEP_1)
	v_add_co_ci_u32_e64 v1, s2, s17, v11, s2
	scratch_load_b64 v[10:11], off, off     ; 8-byte Folded Reload
	s_waitcnt vmcnt(11)
	v_lshrrev_b32_e32 v36, 16, v2
	s_waitcnt vmcnt(10)
	v_lshrrev_b32_e32 v41, 16, v12
	;; [unrolled: 2-line block ×7, first 2 shown]
	v_mul_f16_e32 v40, v30, v2
	v_mul_f16_e32 v30, v30, v36
	;; [unrolled: 1-line block ×3, first 2 shown]
	s_waitcnt vmcnt(4)
	v_lshrrev_b32_e32 v35, 16, v18
	s_waitcnt vmcnt(3)
	v_lshrrev_b32_e32 v37, 16, v19
	v_fma_f16 v36, v13, v36, -v40
	v_fmac_f16_e32 v30, v13, v2
	v_mul_f16_e32 v2, v31, v41
	s_waitcnt vmcnt(0)
	global_load_b32 v22, v[10:11], off offset:304
	v_add_co_u32 v10, s2, v0, s16
	s_delay_alu instid0(VALU_DEP_1) | instskip(SKIP_3) | instid1(VALU_DEP_1)
	v_add_co_ci_u32_e64 v11, s2, s17, v1, s2
	global_load_b32 v23, v[0:1], off
	global_load_b32 v24, v[10:11], off
	v_add_co_u32 v0, s2, v10, s16
	v_add_co_ci_u32_e64 v1, s2, s17, v11, s2
	v_fma_f16 v31, v14, v41, -v43
	s_delay_alu instid0(VALU_DEP_3) | instskip(NEXT) | instid1(VALU_DEP_1)
	v_add_co_u32 v10, s2, v0, s16
	v_add_co_ci_u32_e64 v11, s2, s17, v1, s2
	global_load_b32 v25, v[0:1], off
	v_add_co_u32 v0, s2, v10, s16
	s_delay_alu instid0(VALU_DEP_1) | instskip(SKIP_2) | instid1(VALU_DEP_1)
	v_add_co_ci_u32_e64 v1, s2, s17, v11, s2
	global_load_b32 v26, v[10:11], off
	v_add_co_u32 v10, s2, v0, s16
	v_add_co_ci_u32_e64 v11, s2, s17, v1, s2
	global_load_b32 v27, v[0:1], off
	v_add_co_u32 v0, s2, v10, s16
	s_delay_alu instid0(VALU_DEP_1) | instskip(SKIP_2) | instid1(VALU_DEP_1)
	v_add_co_ci_u32_e64 v1, s2, s17, v11, s2
	global_load_b32 v28, v[10:11], off
	v_add_co_u32 v10, s2, v0, s16
	v_add_co_ci_u32_e64 v11, s2, s17, v1, s2
	global_load_b32 v0, v[0:1], off
	global_load_b32 v1, v[10:11], off
	v_fmac_f16_e32 v2, v14, v12
	v_lshrrev_b32_e32 v38, 16, v20
	v_lshrrev_b32_e32 v39, 16, v21
	v_add_nc_u32_e32 v10, 0x280, v115
	v_pack_b32_f16 v30, v30, v36
	v_pack_b32_f16 v2, v2, v31
	v_add_nc_u32_e32 v11, 0x900, v115
	s_waitcnt vmcnt(8)
	v_lshrrev_b32_e32 v42, 16, v22
	s_waitcnt vmcnt(7)
	v_lshrrev_b32_e32 v13, 16, v23
	v_mul_f16_e32 v40, v32, v23
	s_waitcnt vmcnt(6)
	v_lshrrev_b32_e32 v14, 16, v24
	s_delay_alu instid0(VALU_DEP_3) | instskip(NEXT) | instid1(VALU_DEP_3)
	v_mul_f16_e32 v12, v32, v13
	v_fma_f16 v13, v15, v13, -v40
	v_mul_f16_e32 v32, v33, v24
	s_delay_alu instid0(VALU_DEP_3)
	v_fmac_f16_e32 v12, v15, v23
	v_mul_f16_e32 v15, v33, v14
	s_waitcnt vmcnt(5)
	v_lshrrev_b32_e32 v23, 16, v25
	v_mul_f16_e32 v31, v34, v25
	v_fma_f16 v14, v16, v14, -v32
	v_pack_b32_f16 v12, v12, v13
	v_fmac_f16_e32 v15, v16, v24
	v_mul_f16_e32 v13, v34, v23
	v_fma_f16 v16, v17, v23, -v31
	s_waitcnt vmcnt(4)
	v_lshrrev_b32_e32 v23, 16, v26
	v_mul_f16_e32 v24, v35, v26
	v_pack_b32_f16 v14, v15, v14
	v_fmac_f16_e32 v13, v17, v25
	s_waitcnt vmcnt(3)
	v_lshrrev_b32_e32 v15, 16, v27
	v_mul_f16_e32 v17, v35, v23
	v_fma_f16 v23, v18, v23, -v24
	v_mul_f16_e32 v24, v37, v27
	v_pack_b32_f16 v13, v13, v16
	v_mul_f16_e32 v16, v37, v15
	v_fmac_f16_e32 v17, v18, v26
	s_waitcnt vmcnt(2)
	v_lshrrev_b32_e32 v18, 16, v28
	v_fma_f16 v15, v19, v15, -v24
	v_mul_f16_e32 v24, v38, v28
	v_fmac_f16_e32 v16, v19, v27
	s_waitcnt vmcnt(1)
	v_lshrrev_b32_e32 v19, 16, v0
	s_waitcnt vmcnt(0)
	v_lshrrev_b32_e32 v26, 16, v1
	v_mul_f16_e32 v25, v38, v18
	v_fma_f16 v18, v20, v18, -v24
	v_mul_f16_e32 v24, v39, v0
	v_mul_f16_e32 v27, v39, v19
	;; [unrolled: 1-line block ×4, first 2 shown]
	v_fmac_f16_e32 v25, v20, v28
	v_fma_f16 v19, v21, v19, -v24
	v_fmac_f16_e32 v27, v21, v0
	v_fma_f16 v0, v22, v26, -v31
	v_fmac_f16_e32 v32, v22, v1
	v_pack_b32_f16 v1, v17, v23
	v_pack_b32_f16 v15, v16, v15
	;; [unrolled: 1-line block ×5, first 2 shown]
	v_add_nc_u32_e32 v18, 0x1d80, v115
	ds_store_2addr_b32 v10, v30, v2 offset0:20 offset1:236
	ds_store_2addr_b32 v11, v12, v14 offset0:36 offset1:252
	;; [unrolled: 1-line block ×5, first 2 shown]
.LBB0_3:
	s_or_b32 exec_lo, exec_lo, s6
	v_add_nc_u32_e32 v0, 0x800, v115
	v_add_nc_u32_e32 v1, 0xe00, v115
	s_waitcnt lgkmcnt(0)
	s_waitcnt_vscnt null, 0x0
	s_barrier
	buffer_gl0_inv
	ds_load_2addr_b32 v[38:39], v115 offset1:60
	ds_load_2addr_b32 v[34:35], v115 offset0:120 offset1:216
	ds_load_2addr_b32 v[36:37], v3 offset0:176 offset1:236
	;; [unrolled: 1-line block ×4, first 2 shown]
	v_add_nc_u32_e32 v0, 0x1c00, v115
	ds_load_2addr_b32 v[16:17], v1 offset0:88 offset1:184
	ds_load_2addr_b32 v[26:27], v7 offset0:16 offset1:76
	;; [unrolled: 1-line block ×10, first 2 shown]
	s_load_b64 s[0:1], s[0:1], 0x8
                                        ; implicit-def: $vgpr6
                                        ; implicit-def: $vgpr8
                                        ; implicit-def: $vgpr4
                                        ; implicit-def: $vgpr2
                                        ; implicit-def: $vgpr0
	s_and_saveexec_b32 s2, vcc_lo
	s_cbranch_execz .LBB0_5
; %bb.4:
	v_add_nc_u32_e32 v0, 0x280, v115
	v_add_nc_u32_e32 v1, 0x900, v115
	;; [unrolled: 1-line block ×5, first 2 shown]
	ds_load_2addr_b32 v[6:7], v0 offset0:20 offset1:236
	ds_load_2addr_b32 v[8:9], v1 offset0:36 offset1:252
	;; [unrolled: 1-line block ×5, first 2 shown]
.LBB0_5:
	s_or_b32 exec_lo, exec_lo, s2
	s_waitcnt lgkmcnt(0)
	v_add_f16_e32 v40, v24, v26
	v_lshrrev_b32_e32 v42, 16, v36
	v_lshrrev_b32_e32 v43, 16, v22
	;; [unrolled: 1-line block ×4, first 2 shown]
	v_fma_f16 v47, -0.5, v40, v38
	v_sub_f16_e32 v50, v22, v26
	v_sub_f16_e32 v45, v42, v43
	;; [unrolled: 1-line block ×4, first 2 shown]
	v_add_f16_e32 v52, v36, v22
	v_lshrrev_b32_e32 v55, 16, v38
	v_fmamk_f16 v48, v45, 0x3b9c, v47
	v_fmac_f16_e32 v47, 0xbb9c, v45
	v_add_f16_e32 v50, v51, v50
	v_fma_f16 v51, -0.5, v52, v38
	v_add_f16_e32 v52, v44, v46
	v_fmac_f16_e32 v48, 0x38b4, v49
	v_fmac_f16_e32 v47, 0xb8b4, v49
	v_pk_add_f16 v38, v38, v36
	v_fmamk_f16 v56, v49, 0xbb9c, v51
	v_fma_f16 v57, -0.5, v52, v55
	v_fmac_f16_e32 v48, 0x34f2, v50
	v_fmac_f16_e32 v47, 0x34f2, v50
	v_sub_f16_e32 v50, v36, v22
	v_sub_f16_e32 v52, v26, v22
	;; [unrolled: 1-line block ×3, first 2 shown]
	v_fmac_f16_e32 v51, 0x3b9c, v49
	v_fmac_f16_e32 v56, 0x38b4, v45
	v_sub_f16_e32 v53, v24, v26
	v_sub_f16_e32 v54, v42, v44
	v_add_f16_e32 v36, v36, v52
	v_add_f16_e32 v52, v42, v43
	v_fmac_f16_e32 v51, 0xb8b4, v45
	v_sub_f16_e32 v58, v43, v46
	v_fmamk_f16 v49, v50, 0xbb9c, v57
	v_fmac_f16_e32 v56, 0x34f2, v36
	v_fmac_f16_e32 v55, -0.5, v52
	v_fmac_f16_e32 v51, 0x34f2, v36
	v_add_f16_e32 v36, v17, v13
	v_add_f16_e32 v45, v54, v58
	v_fmac_f16_e32 v57, 0x3b9c, v50
	v_fmamk_f16 v58, v53, 0x3b9c, v55
	v_sub_f16_e32 v42, v44, v42
	v_fma_f16 v44, -0.5, v36, v35
	v_sub_f16_e32 v36, v46, v43
	v_fmac_f16_e32 v55, 0xbb9c, v53
	v_fmac_f16_e32 v49, 0xb8b4, v53
	;; [unrolled: 1-line block ×3, first 2 shown]
	v_lshrrev_b32_e32 v52, 16, v33
	v_lshrrev_b32_e32 v54, 16, v11
	v_fmac_f16_e32 v58, 0xb8b4, v50
	v_lshrrev_b32_e32 v59, 16, v17
	v_lshrrev_b32_e32 v61, 16, v13
	v_add_f16_e32 v43, v33, v11
	v_add_f16_e32 v36, v42, v36
	v_fmac_f16_e32 v55, 0x38b4, v50
	v_fmac_f16_e32 v49, 0x34f2, v45
	;; [unrolled: 1-line block ×3, first 2 shown]
	v_sub_f16_e32 v45, v52, v54
	v_sub_f16_e32 v53, v59, v61
	;; [unrolled: 1-line block ×4, first 2 shown]
	v_fma_f16 v64, -0.5, v43, v35
	v_fmac_f16_e32 v58, 0x34f2, v36
	v_fmac_f16_e32 v55, 0x34f2, v36
	v_pk_add_f16 v36, v35, v33
	v_add_f16_e32 v43, v59, v61
	v_lshrrev_b32_e32 v35, 16, v35
	v_add_f16_e32 v65, v52, v54
	v_fmamk_f16 v46, v45, 0x3b9c, v44
	v_add_f16_e32 v42, v63, v62
	v_fmamk_f16 v50, v53, 0xbb9c, v64
	v_sub_f16_e32 v62, v13, v11
	v_sub_f16_e32 v63, v17, v33
	v_fmac_f16_e32 v64, 0x3b9c, v53
	v_fma_f16 v66, -0.5, v43, v35
	v_sub_f16_e32 v33, v33, v11
	v_sub_f16_e32 v43, v17, v13
	v_fmac_f16_e32 v35, -0.5, v65
	v_fmac_f16_e32 v46, 0x38b4, v53
	v_fmac_f16_e32 v44, 0xbb9c, v45
	;; [unrolled: 1-line block ×3, first 2 shown]
	v_add_f16_e32 v62, v63, v62
	v_fmac_f16_e32 v64, 0xb8b4, v45
	v_fmamk_f16 v63, v33, 0xbb9c, v66
	v_sub_f16_e32 v45, v52, v59
	v_fmamk_f16 v65, v43, 0x3b9c, v35
	v_sub_f16_e32 v52, v59, v52
	v_sub_f16_e32 v59, v61, v54
	;; [unrolled: 1-line block ×3, first 2 shown]
	v_fmac_f16_e32 v35, 0xbb9c, v43
	v_fmac_f16_e32 v66, 0x3b9c, v33
	;; [unrolled: 1-line block ×5, first 2 shown]
	v_add_f16_e32 v52, v52, v59
	v_add_f16_e32 v45, v45, v54
	v_fmac_f16_e32 v35, 0x38b4, v33
	v_fmac_f16_e32 v64, 0x34f2, v62
	;; [unrolled: 1-line block ×8, first 2 shown]
	v_mul_f16_e32 v59, 0x3a79, v46
	v_mul_f16_e32 v33, 0x34f2, v64
	v_fmac_f16_e32 v44, 0x34f2, v42
	v_fmac_f16_e32 v66, 0x34f2, v45
	v_mul_f16_e32 v61, 0x3b9c, v65
	v_fmac_f16_e32 v59, 0x38b4, v63
	v_fma_f16 v62, v35, 0x3b9c, -v33
	v_mul_f16_e32 v33, 0x3a79, v44
	v_mul_f16_e32 v67, 0xb8b4, v46
	;; [unrolled: 1-line block ×5, first 2 shown]
	v_fmac_f16_e32 v61, 0x34f2, v50
	v_add_f16_e32 v43, v48, v59
	v_fma_f16 v50, v66, 0x38b4, -v33
	v_fmac_f16_e32 v67, 0x3a79, v63
	v_fmac_f16_e32 v70, 0x34f2, v65
	v_fma_f16 v63, v64, 0xbb9c, -v35
	v_fma_f16 v64, v44, 0xb8b4, -v46
	v_sub_f16_e32 v44, v48, v59
	v_add_f16_e32 v59, v25, v27
	v_lshrrev_b32_e32 v65, 16, v37
	v_lshrrev_b32_e32 v66, 16, v23
	v_add_f16_e32 v42, v56, v61
	v_sub_f16_e32 v48, v56, v61
	v_fma_f16 v75, -0.5, v59, v39
	v_lshrrev_b32_e32 v59, 16, v25
	v_sub_f16_e32 v56, v65, v66
	v_lshrrev_b32_e32 v61, 16, v27
	v_add_f16_e32 v45, v51, v62
	v_add_f16_e32 v33, v47, v50
	;; [unrolled: 1-line block ×5, first 2 shown]
	v_sub_f16_e32 v46, v51, v62
	v_sub_f16_e32 v47, v47, v50
	;; [unrolled: 1-line block ×5, first 2 shown]
	v_fmamk_f16 v58, v56, 0x3b9c, v75
	v_sub_f16_e32 v62, v59, v61
	v_sub_f16_e32 v63, v23, v27
	;; [unrolled: 1-line block ×3, first 2 shown]
	v_add_f16_e32 v70, v37, v23
	v_fmac_f16_e32 v75, 0xbb9c, v56
	v_add_f16_e32 v35, v57, v64
	v_sub_f16_e32 v55, v57, v64
	v_fmac_f16_e32 v58, 0x38b4, v62
	v_add_f16_e32 v57, v67, v63
	v_fma_f16 v63, -0.5, v70, v39
	v_fmac_f16_e32 v75, 0xb8b4, v62
	v_add_f16_e32 v64, v59, v61
	v_lshrrev_b32_e32 v76, 16, v39
	v_pk_add_f16 v39, v39, v37
	v_fmamk_f16 v67, v62, 0xbb9c, v63
	v_fmac_f16_e32 v58, 0x34f2, v57
	v_fmac_f16_e32 v75, 0x34f2, v57
	v_fma_f16 v77, -0.5, v64, v76
	v_sub_f16_e32 v57, v37, v23
	v_sub_f16_e32 v64, v27, v23
	;; [unrolled: 1-line block ×3, first 2 shown]
	v_fmac_f16_e32 v63, 0x3b9c, v62
	v_fmac_f16_e32 v67, 0x38b4, v56
	v_fmamk_f16 v78, v57, 0xbb9c, v77
	v_sub_f16_e32 v62, v25, v27
	v_sub_f16_e32 v70, v65, v59
	;; [unrolled: 1-line block ×3, first 2 shown]
	v_add_f16_e32 v37, v37, v64
	v_add_f16_e32 v64, v65, v66
	v_fmac_f16_e32 v63, 0xb8b4, v56
	v_fmac_f16_e32 v77, 0x3b9c, v57
	v_fmac_f16_e32 v78, 0xb8b4, v62
	v_add_f16_e32 v56, v70, v71
	v_fmac_f16_e32 v76, -0.5, v64
	v_fmac_f16_e32 v67, 0x34f2, v37
	v_fmac_f16_e32 v63, 0x34f2, v37
	;; [unrolled: 1-line block ×3, first 2 shown]
	v_add_f16_e32 v37, v20, v18
	v_fmac_f16_e32 v78, 0x34f2, v56
	v_fmamk_f16 v79, v62, 0x3b9c, v76
	v_fmac_f16_e32 v76, 0xbb9c, v62
	v_fmac_f16_e32 v77, 0x34f2, v56
	v_sub_f16_e32 v56, v59, v65
	v_fma_f16 v65, -0.5, v37, v30
	v_sub_f16_e32 v37, v61, v66
	v_lshrrev_b32_e32 v64, 16, v28
	v_lshrrev_b32_e32 v70, 16, v14
	v_fmac_f16_e32 v79, 0xb8b4, v57
	v_lshrrev_b32_e32 v71, 16, v20
	v_lshrrev_b32_e32 v80, 16, v18
	v_add_f16_e32 v61, v28, v14
	v_add_f16_e32 v37, v56, v37
	v_fmac_f16_e32 v76, 0x38b4, v57
	v_sub_f16_e32 v81, v14, v18
	v_sub_f16_e32 v66, v71, v80
	;; [unrolled: 1-line block ×3, first 2 shown]
	v_fma_f16 v56, -0.5, v61, v30
	v_fmac_f16_e32 v79, 0x34f2, v37
	v_fmac_f16_e32 v76, 0x34f2, v37
	v_pk_add_f16 v37, v30, v28
	v_add_f16_e32 v61, v71, v80
	v_lshrrev_b32_e32 v30, 16, v30
	v_add_f16_e32 v84, v64, v70
	v_sub_f16_e32 v59, v64, v70
	v_add_f16_e32 v57, v82, v81
	v_fmamk_f16 v81, v66, 0xbb9c, v56
	v_fmac_f16_e32 v56, 0x3b9c, v66
	v_fma_f16 v86, -0.5, v61, v30
	v_sub_f16_e32 v61, v20, v18
	v_fmac_f16_e32 v30, -0.5, v84
	v_fmamk_f16 v62, v59, 0x3b9c, v65
	v_fmac_f16_e32 v65, 0xbb9c, v59
	v_fmac_f16_e32 v81, 0x38b4, v59
	v_sub_f16_e32 v82, v18, v14
	v_sub_f16_e32 v83, v20, v28
	;; [unrolled: 1-line block ×3, first 2 shown]
	v_fmac_f16_e32 v56, 0xb8b4, v59
	v_sub_f16_e32 v59, v64, v71
	v_fmamk_f16 v84, v61, 0x3b9c, v30
	v_sub_f16_e32 v64, v71, v64
	v_sub_f16_e32 v71, v80, v70
	v_add_f16_e32 v82, v83, v82
	v_fmamk_f16 v83, v28, 0xbb9c, v86
	v_sub_f16_e32 v70, v70, v80
	v_fmac_f16_e32 v84, 0xb8b4, v28
	v_add_f16_e32 v64, v64, v71
	v_fmac_f16_e32 v86, 0x3b9c, v28
	v_fmac_f16_e32 v62, 0x38b4, v66
	;; [unrolled: 1-line block ×3, first 2 shown]
	v_add_f16_e32 v59, v59, v70
	v_fmac_f16_e32 v84, 0x34f2, v64
	v_fmac_f16_e32 v65, 0xb8b4, v66
	;; [unrolled: 1-line block ×8, first 2 shown]
	v_mul_f16_e32 v80, 0x3b9c, v84
	v_fmac_f16_e32 v65, 0x34f2, v57
	v_fmac_f16_e32 v86, 0x34f2, v59
	;; [unrolled: 1-line block ×4, first 2 shown]
	v_mul_f16_e32 v64, 0x3a79, v62
	v_mul_f16_e32 v28, 0x34f2, v56
	v_fmac_f16_e32 v80, 0x34f2, v81
	v_mul_f16_e32 v57, 0x3a79, v65
	v_mul_f16_e32 v82, 0xb8b4, v62
	;; [unrolled: 1-line block ×4, first 2 shown]
	v_fmac_f16_e32 v64, 0x38b4, v83
	v_fma_f16 v66, v30, 0x3b9c, -v28
	v_mul_f16_e32 v30, 0x34f2, v30
	v_fma_f16 v86, v86, 0x38b4, -v57
	v_fmac_f16_e32 v81, 0x34f2, v84
	v_fma_f16 v84, v65, 0xb8b4, -v62
	v_add_f16_e32 v65, v16, v12
	v_lshrrev_b32_e32 v87, 16, v32
	v_lshrrev_b32_e32 v88, 16, v10
	v_add_f16_e32 v59, v58, v64
	v_add_f16_e32 v28, v67, v80
	;; [unrolled: 1-line block ×3, first 2 shown]
	v_fmac_f16_e32 v82, 0x3a79, v83
	v_fma_f16 v83, v56, 0xbb9c, -v30
	v_add_f16_e32 v30, v75, v86
	v_sub_f16_e32 v58, v58, v64
	v_sub_f16_e32 v64, v67, v80
	;; [unrolled: 1-line block ×4, first 2 shown]
	v_fma_f16 v75, -0.5, v65, v34
	v_sub_f16_e32 v80, v87, v88
	v_lshrrev_b32_e32 v86, 16, v16
	v_lshrrev_b32_e32 v89, 16, v12
	v_add_f16_e32 v70, v78, v82
	v_add_f16_e32 v57, v79, v81
	v_add_f16_e32 v71, v76, v83
	v_sub_f16_e32 v67, v78, v82
	v_sub_f16_e32 v66, v79, v81
	v_sub_f16_e32 v65, v76, v83
	v_fmamk_f16 v76, v80, 0x3b9c, v75
	v_sub_f16_e32 v78, v86, v89
	v_sub_f16_e32 v81, v10, v12
	;; [unrolled: 1-line block ×3, first 2 shown]
	v_add_f16_e32 v83, v32, v10
	v_fmac_f16_e32 v75, 0xbb9c, v80
	v_add_f16_e32 v56, v77, v84
	v_sub_f16_e32 v79, v77, v84
	v_fmac_f16_e32 v76, 0x38b4, v78
	v_add_f16_e32 v77, v82, v81
	v_fma_f16 v81, -0.5, v83, v34
	v_fmac_f16_e32 v75, 0xb8b4, v78
	v_add_f16_e32 v82, v86, v89
	v_lshrrev_b32_e32 v83, 16, v34
	v_pk_add_f16 v34, v34, v32
	v_fmac_f16_e32 v76, 0x34f2, v77
	v_fmac_f16_e32 v75, 0x34f2, v77
	v_sub_f16_e32 v90, v12, v10
	v_fma_f16 v77, -0.5, v82, v83
	v_sub_f16_e32 v82, v32, v10
	v_sub_f16_e32 v32, v16, v32
	v_fmamk_f16 v84, v78, 0xbb9c, v81
	v_fmac_f16_e32 v81, 0x3b9c, v78
	v_sub_f16_e32 v91, v16, v12
	v_fmamk_f16 v78, v82, 0xbb9c, v77
	v_sub_f16_e32 v92, v87, v86
	v_sub_f16_e32 v93, v88, v89
	v_add_f16_e32 v32, v32, v90
	v_add_f16_e32 v90, v87, v88
	v_fmac_f16_e32 v77, 0x3b9c, v82
	v_fmac_f16_e32 v84, 0x38b4, v80
	;; [unrolled: 1-line block ×4, first 2 shown]
	v_add_f16_e32 v80, v92, v93
	v_fmac_f16_e32 v83, -0.5, v90
	v_fmac_f16_e32 v77, 0x38b4, v91
	v_fmac_f16_e32 v84, 0x34f2, v32
	;; [unrolled: 1-line block ×4, first 2 shown]
	v_fmamk_f16 v32, v91, 0x3b9c, v83
	v_add_f16_e32 v90, v21, v19
	v_fmac_f16_e32 v77, 0x34f2, v80
	v_sub_f16_e32 v80, v86, v87
	v_sub_f16_e32 v88, v89, v88
	v_fmac_f16_e32 v83, 0xbb9c, v91
	v_lshrrev_b32_e32 v92, 16, v29
	v_lshrrev_b32_e32 v93, 16, v15
	v_fmac_f16_e32 v32, 0xb8b4, v82
	v_fma_f16 v86, -0.5, v90, v31
	v_lshrrev_b32_e32 v90, 16, v21
	v_lshrrev_b32_e32 v94, 16, v19
	v_add_f16_e32 v91, v29, v15
	v_sub_f16_e32 v96, v15, v19
	v_sub_f16_e32 v97, v29, v21
	v_add_f16_e32 v80, v80, v88
	v_fmac_f16_e32 v83, 0x38b4, v82
	v_fma_f16 v88, -0.5, v91, v31
	v_add_f16_e32 v99, v92, v93
	v_add_f16_e32 v82, v97, v96
	v_fmac_f16_e32 v32, 0x34f2, v80
	v_fmac_f16_e32 v83, 0x34f2, v80
	v_pk_add_f16 v96, v31, v29
	v_add_f16_e32 v80, v90, v94
	v_lshrrev_b32_e32 v31, 16, v31
	v_sub_f16_e32 v97, v19, v15
	v_sub_f16_e32 v98, v21, v29
	v_sub_f16_e32 v100, v21, v19
	v_sub_f16_e32 v87, v92, v93
	v_fma_f16 v80, -0.5, v80, v31
	v_fmac_f16_e32 v31, -0.5, v99
	v_sub_f16_e32 v95, v90, v94
	v_sub_f16_e32 v29, v29, v15
	v_add_f16_e32 v97, v98, v97
	v_sub_f16_e32 v98, v92, v90
	v_fmamk_f16 v99, v100, 0x3b9c, v31
	v_sub_f16_e32 v90, v90, v92
	v_sub_f16_e32 v92, v94, v93
	v_fmamk_f16 v89, v87, 0x3b9c, v86
	v_fmamk_f16 v91, v95, 0xbb9c, v88
	v_fmac_f16_e32 v88, 0x3b9c, v95
	v_fmac_f16_e32 v31, 0xbb9c, v100
	;; [unrolled: 1-line block ×3, first 2 shown]
	v_add_f16_e32 v90, v90, v92
	v_fmac_f16_e32 v89, 0x38b4, v95
	v_fmac_f16_e32 v86, 0xbb9c, v87
	;; [unrolled: 1-line block ×4, first 2 shown]
	v_fmamk_f16 v87, v29, 0xbb9c, v80
	v_sub_f16_e32 v93, v93, v94
	v_fmac_f16_e32 v31, 0x38b4, v29
	v_fmac_f16_e32 v99, 0x34f2, v90
	;; [unrolled: 1-line block ×4, first 2 shown]
	v_add_f16_e32 v92, v98, v93
	v_fmac_f16_e32 v91, 0x34f2, v97
	v_fmac_f16_e32 v88, 0x34f2, v97
	;; [unrolled: 1-line block ×4, first 2 shown]
	v_mul_f16_e32 v90, 0x3b9c, v99
	v_fmac_f16_e32 v86, 0xb8b4, v95
	v_fmac_f16_e32 v87, 0x34f2, v92
	v_mul_f16_e32 v29, 0x3a79, v89
	v_mul_f16_e32 v93, 0x34f2, v88
	v_fmac_f16_e32 v80, 0x38b4, v100
	v_fmac_f16_e32 v90, 0x34f2, v91
	;; [unrolled: 1-line block ×3, first 2 shown]
	v_mul_f16_e32 v91, 0xbb9c, v91
	v_fmac_f16_e32 v29, 0x38b4, v87
	v_fma_f16 v93, v31, 0x3b9c, -v93
	v_fmac_f16_e32 v80, 0x34f2, v92
	v_mul_f16_e32 v82, 0x3a79, v86
	v_mul_f16_e32 v89, 0xb8b4, v89
	;; [unrolled: 1-line block ×3, first 2 shown]
	v_fmac_f16_e32 v91, 0x34f2, v99
	v_add_f16_e32 v97, v76, v29
	v_add_f16_e32 v98, v84, v90
	v_mul_f16_e32 v92, 0x3a79, v80
	v_fma_f16 v80, v80, 0x38b4, -v82
	v_fmac_f16_e32 v89, 0x3a79, v87
	v_fma_f16 v82, v88, 0xbb9c, -v31
	v_add_f16_e32 v102, v32, v91
	v_sub_f16_e32 v105, v76, v29
	v_add_f16_e32 v29, v4, v2
	v_lshrrev_b32_e32 v76, 16, v8
	v_lshrrev_b32_e32 v87, 16, v0
	v_sub_f16_e32 v106, v84, v90
	v_lshrrev_b32_e32 v88, 16, v4
	v_lshrrev_b32_e32 v90, 16, v2
	v_sub_f16_e32 v110, v32, v91
	v_add_f16_e32 v32, v8, v0
	v_add_f16_e32 v100, v81, v93
	v_fma_f16 v86, v86, 0xb8b4, -v92
	v_add_f16_e32 v99, v75, v80
	v_add_f16_e32 v101, v78, v89
	v_sub_f16_e32 v107, v81, v93
	v_sub_f16_e32 v108, v75, v80
	v_fma_f16 v29, -0.5, v29, v6
	v_sub_f16_e32 v75, v76, v87
	v_sub_f16_e32 v109, v78, v89
	v_sub_f16_e32 v78, v88, v90
	v_sub_f16_e32 v80, v0, v2
	v_sub_f16_e32 v81, v8, v4
	v_fma_f16 v32, -0.5, v32, v6
	v_add_f16_e32 v104, v77, v86
	v_fmamk_f16 v31, v75, 0x3b9c, v29
	v_sub_f16_e32 v112, v77, v86
	v_add_f16_e32 v77, v81, v80
	v_fmac_f16_e32 v29, 0xbb9c, v75
	v_fmamk_f16 v80, v78, 0xbb9c, v32
	v_fmac_f16_e32 v32, 0x3b9c, v78
	v_add_f16_e32 v103, v83, v82
	v_sub_f16_e32 v111, v83, v82
	v_fmac_f16_e32 v31, 0x38b4, v78
	v_sub_f16_e32 v81, v2, v0
	v_sub_f16_e32 v83, v4, v8
	v_add_f16_e32 v84, v88, v90
	v_lshrrev_b32_e32 v82, 16, v6
	v_fmac_f16_e32 v29, 0xb8b4, v78
	v_fmac_f16_e32 v80, 0x38b4, v75
	;; [unrolled: 1-line block ×3, first 2 shown]
	v_add_f16_e32 v75, v76, v87
	v_add_f16_e32 v86, v83, v81
	v_fma_f16 v83, -0.5, v84, v82
	v_sub_f16_e32 v78, v8, v0
	v_fmac_f16_e32 v31, 0x34f2, v77
	v_fmac_f16_e32 v29, 0x34f2, v77
	v_sub_f16_e32 v77, v4, v2
	v_sub_f16_e32 v84, v76, v88
	v_sub_f16_e32 v89, v87, v90
	v_fmac_f16_e32 v82, -0.5, v75
	v_fmamk_f16 v81, v78, 0xbb9c, v83
	v_fmac_f16_e32 v83, 0x3b9c, v78
	v_sub_f16_e32 v76, v88, v76
	v_add_f16_e32 v75, v84, v89
	v_fmamk_f16 v84, v77, 0x3b9c, v82
	v_sub_f16_e32 v87, v90, v87
	v_fmac_f16_e32 v82, 0xbb9c, v77
	v_sub_f16_e32 v90, v1, v3
	v_sub_f16_e32 v94, v9, v5
	v_fmac_f16_e32 v80, 0x34f2, v86
	v_fmac_f16_e32 v32, 0x34f2, v86
	;; [unrolled: 1-line block ×4, first 2 shown]
	v_add_f16_e32 v86, v5, v3
	v_lshrrev_b32_e32 v89, 16, v9
	v_lshrrev_b32_e32 v91, 16, v1
	v_fmac_f16_e32 v84, 0xb8b4, v78
	v_lshrrev_b32_e32 v92, 16, v5
	v_lshrrev_b32_e32 v93, 16, v3
	v_add_f16_e32 v95, v9, v1
	v_add_f16_e32 v76, v76, v87
	v_fmac_f16_e32 v82, 0x38b4, v78
	v_add_f16_e32 v78, v94, v90
	v_sub_f16_e32 v87, v3, v1
	v_sub_f16_e32 v90, v5, v9
	v_fmac_f16_e32 v81, 0x34f2, v75
	v_fmac_f16_e32 v83, 0x34f2, v75
	v_fma_f16 v75, -0.5, v86, v7
	v_sub_f16_e32 v86, v89, v91
	v_sub_f16_e32 v88, v92, v93
	v_fma_f16 v94, -0.5, v95, v7
	v_add_f16_e32 v95, v92, v93
	v_lshrrev_b32_e32 v113, 16, v7
	v_add_f16_e32 v87, v90, v87
	v_add_f16_e32 v90, v89, v91
	v_fmamk_f16 v77, v86, 0x3b9c, v75
	v_fmac_f16_e32 v84, 0x34f2, v76
	v_fmac_f16_e32 v82, 0x34f2, v76
	;; [unrolled: 1-line block ×3, first 2 shown]
	v_fmamk_f16 v76, v88, 0xbb9c, v94
	v_fmac_f16_e32 v94, 0x3b9c, v88
	v_fma_f16 v95, -0.5, v95, v113
	v_sub_f16_e32 v114, v5, v3
	v_fmac_f16_e32 v113, -0.5, v90
	v_fmac_f16_e32 v77, 0x38b4, v88
	v_fmac_f16_e32 v75, 0xb8b4, v88
	;; [unrolled: 1-line block ×3, first 2 shown]
	v_sub_f16_e32 v88, v9, v1
	v_fmac_f16_e32 v94, 0xb8b4, v86
	v_sub_f16_e32 v86, v89, v92
	v_fmamk_f16 v117, v114, 0x3b9c, v113
	v_sub_f16_e32 v89, v92, v89
	v_sub_f16_e32 v90, v93, v91
	v_fmac_f16_e32 v113, 0xbb9c, v114
	v_fmamk_f16 v116, v88, 0xbb9c, v95
	v_fmac_f16_e32 v117, 0xb8b4, v88
	v_sub_f16_e32 v91, v91, v93
	v_add_f16_e32 v89, v89, v90
	v_fmac_f16_e32 v95, 0x3b9c, v88
	v_fmac_f16_e32 v113, 0x38b4, v88
	v_pk_add_f16 v24, v38, v24
	v_pk_add_f16 v17, v36, v17
	v_fmac_f16_e32 v117, 0x34f2, v89
	v_fmac_f16_e32 v76, 0x34f2, v87
	;; [unrolled: 1-line block ×3, first 2 shown]
	v_add_f16_e32 v90, v86, v91
	v_fmac_f16_e32 v94, 0x34f2, v87
	v_fmac_f16_e32 v95, 0x38b4, v114
	;; [unrolled: 1-line block ×3, first 2 shown]
	v_mul_f16_e32 v87, 0x3b9c, v117
	v_pk_add_f16 v24, v24, v26
	v_pk_add_f16 v13, v17, v13
	v_fmac_f16_e32 v75, 0x34f2, v78
	v_mul_lo_u16 v36, v174, 10
	v_fmac_f16_e32 v116, 0x34f2, v90
	v_fmac_f16_e32 v95, 0x34f2, v90
	;; [unrolled: 1-line block ×3, first 2 shown]
	v_mul_f16_e32 v90, 0xbb9c, v76
	v_mul_f16_e32 v76, 0x34f2, v113
	v_pk_add_f16 v22, v24, v22
	v_pk_add_f16 v11, v13, v11
	v_fmac_f16_e32 v77, 0x34f2, v78
	v_mul_f16_e32 v78, 0x3a79, v75
	v_and_b32_e32 v17, 0xffff, v36
	v_pk_add_f16 v13, v37, v20
	v_mul_f16_e32 v88, 0x34f2, v94
	v_fma_f16 v92, v94, 0xbb9c, -v76
	v_pk_add_f16 v94, v22, v11
	v_pk_add_f16 v26, v22, v11 neg_lo:[0,1] neg_hi:[0,1]
	v_pk_add_f16 v11, v39, v25
	v_mul_f16_e32 v86, 0x3a79, v77
	v_mul_f16_e32 v89, 0xb8b4, v77
	;; [unrolled: 1-line block ×3, first 2 shown]
	v_fma_f16 v91, v95, 0x38b4, -v78
	v_lshlrev_b32_e32 v210, 2, v17
	v_pack_b32_f16 v95, v43, v53
	v_pack_b32_f16 v43, v45, v54
	;; [unrolled: 1-line block ×6, first 2 shown]
	v_pk_add_f16 v13, v13, v18
	v_pack_b32_f16 v18, v47, v55
	v_pack_b32_f16 v17, v46, v49
	v_add_co_u32 v60, s2, v174, 60
	v_pk_add_f16 v11, v11, v27
	s_barrier
	buffer_gl0_inv
	ds_store_2addr_b64 v210, v[94:95], v[42:43] offset1:1
	ds_store_2addr_b64 v210, v[25:26], v[36:37] offset0:2 offset1:3
	ds_store_b64 v210, v[17:18] offset:32
	v_pk_add_f16 v18, v34, v16
	v_pk_add_f16 v21, v96, v21
	v_add_co_u32 v41, null, 0x78, v174
	v_mul_u32_u24_e32 v20, 10, v60
	v_pk_add_f16 v11, v11, v23
	v_pk_add_f16 v22, v13, v14
	;; [unrolled: 1-line block ×4, first 2 shown]
	v_add_co_ci_u32_e64 v40, null, 0, 0, s2
	v_add_co_u32 v40, null, 0xb4, v174
	v_fmac_f16_e32 v86, 0x38b4, v116
	v_fma_f16 v88, v113, 0x3b9c, -v88
	v_fmac_f16_e32 v89, 0x3a79, v116
	v_fmac_f16_e32 v90, 0x34f2, v117
	v_fma_f16 v93, v75, 0xb8b4, -v77
	v_lshlrev_b32_e32 v191, 2, v20
	v_pk_add_f16 v13, v11, v22
	v_pack_b32_f16 v14, v59, v70
	v_pack_b32_f16 v17, v61, v71
	v_pack_b32_f16 v16, v28, v57
	v_pk_add_f16 v20, v11, v22 neg_lo:[0,1] neg_hi:[0,1]
	v_mul_u32_u24_e32 v22, 10, v41
	v_pack_b32_f16 v11, v58, v67
	v_pack_b32_f16 v12, v64, v66
	;; [unrolled: 1-line block ×3, first 2 shown]
	v_pk_add_f16 v18, v18, v10
	v_pk_add_f16 v21, v21, v15
	v_sub_f16_e32 v77, v31, v86
	v_sub_f16_e32 v78, v80, v87
	v_sub_f16_e32 v75, v32, v88
	v_sub_f16_e32 v76, v29, v91
	v_sub_f16_e64 v182, v81, v89
	v_sub_f16_e64 v185, v84, v90
	;; [unrolled: 1-line block ×4, first 2 shown]
	ds_store_2addr_b64 v191, v[13:14], v[16:17] offset1:1
	ds_store_2addr_b64 v191, v[19:20], v[11:12] offset0:2 offset1:3
	v_pack_b32_f16 v11, v63, v79
	v_pack_b32_f16 v10, v62, v65
	v_lshlrev_b32_e32 v194, 2, v22
	v_mul_u32_u24_e32 v22, 10, v40
	v_pk_add_f16 v12, v18, v21
	v_pack_b32_f16 v13, v97, v101
	v_pack_b32_f16 v15, v100, v103
	;; [unrolled: 1-line block ×3, first 2 shown]
	v_pk_add_f16 v17, v18, v21 neg_lo:[0,1] neg_hi:[0,1]
	v_pack_b32_f16 v18, v105, v109
	v_pack_b32_f16 v19, v106, v110
	;; [unrolled: 1-line block ×5, first 2 shown]
	scratch_store_b32 off, v22, off offset:200 ; 4-byte Folded Spill
	ds_store_b64 v191, v[10:11] offset:32
	ds_store_2addr_b64 v194, v[12:13], v[14:15] offset1:1
	ds_store_2addr_b64 v194, v[16:17], v[18:19] offset0:2 offset1:3
	ds_store_b64 v194, v[20:21] offset:32
	s_and_saveexec_b32 s2, vcc_lo
	s_cbranch_execz .LBB0_7
; %bb.6:
	v_pk_add_f16 v6, v6, v8
	v_pk_add_f16 v7, v7, v9
	v_add_f16_e32 v9, v82, v92
	v_add_f16_e32 v11, v31, v86
	;; [unrolled: 1-line block ×3, first 2 shown]
	v_pk_add_f16 v4, v6, v4
	v_pk_add_f16 v5, v7, v5
	v_add_f16_e32 v6, v84, v90
	v_add_f16_e32 v7, v81, v89
	;; [unrolled: 1-line block ×3, first 2 shown]
	v_pk_add_f16 v2, v4, v2
	v_pk_add_f16 v3, v5, v3
	v_add_f16_e32 v4, v32, v88
	v_add_f16_e32 v5, v80, v87
	s_delay_alu instid0(VALU_DEP_4) | instskip(NEXT) | instid1(VALU_DEP_4)
	v_pk_add_f16 v12, v2, v0
	v_pk_add_f16 v13, v3, v1
	v_mul_u32_u24_e32 v0, 10, v40
	v_pack_b32_f16 v1, v4, v9
	v_pack_b32_f16 v3, v11, v7
	v_perm_b32 v7, v185, v78, 0x5040100
	v_pk_add_f16 v2, v12, v13
	v_lshlrev_b32_e32 v14, 2, v0
	v_pack_b32_f16 v0, v5, v6
	v_pk_add_f16 v5, v12, v13 neg_lo:[0,1] neg_hi:[0,1]
	v_perm_b32 v6, v182, v77, 0x5040100
	v_pack_b32_f16 v4, v10, v8
	v_perm_b32 v9, v184, v76, 0x5040100
	v_perm_b32 v8, v183, v75, 0x5040100
	ds_store_2addr_b64 v14, v[2:3], v[0:1] offset1:1
	ds_store_2addr_b64 v14, v[4:5], v[6:7] offset0:2 offset1:3
	ds_store_b64 v14, v[8:9] offset:32
.LBB0_7:
	s_or_b32 exec_lo, exec_lo, s2
	v_and_b32_e32 v0, 0xff, v174
	v_and_b32_e32 v1, 0xff, v60
	s_waitcnt lgkmcnt(0)
	s_waitcnt_vscnt null, 0x0
	s_barrier
	buffer_gl0_inv
	v_mul_lo_u16 v0, 0xcd, v0
	v_mul_lo_u16 v1, 0xcd, v1
	v_add_nc_u32_e32 v91, 0x400, v115
	v_add_nc_u32_e32 v92, 0xa00, v115
	;; [unrolled: 1-line block ×3, first 2 shown]
	v_lshrrev_b16 v10, 11, v0
	v_lshrrev_b16 v8, 11, v1
	v_add_nc_u32_e32 v94, 0x1400, v115
	v_add_nc_u32_e32 v103, 0x1c00, v115
	;; [unrolled: 1-line block ×3, first 2 shown]
	v_mul_lo_u16 v0, v10, 10
	v_mul_lo_u16 v1, v8, 10
	v_and_b32_e32 v10, 0xffff, v10
	v_add_nc_u32_e32 v97, 0xc00, v115
	v_add_nc_u32_e32 v130, 0x1800, v115
	v_sub_nc_u16 v0, v174, v0
	v_sub_nc_u16 v1, v60, v1
	v_mul_u32_u24_e32 v10, 60, v10
	v_add_nc_u32_e32 v86, 0x200, v115
	v_add_nc_u32_e32 v98, 0x800, v115
	v_and_b32_e32 v11, 0xff, v0
	v_and_b32_e32 v9, 0xff, v1
	v_add_nc_u32_e32 v131, 0x1e00, v115
	v_and_b32_e32 v8, 0xffff, v8
	s_delay_alu instid0(VALU_DEP_4) | instskip(NEXT) | instid1(VALU_DEP_4)
	v_mad_u64_u32 v[12:13], null, v11, 20, s[0:1]
	v_mad_u64_u32 v[14:15], null, v9, 20, s[0:1]
	v_add_lshl_u32 v198, v10, v11, 2
	s_delay_alu instid0(VALU_DEP_4)
	v_mul_u32_u24_e32 v8, 60, v8
	s_clause 0x3
	global_load_b128 v[4:7], v[12:13], off
	global_load_b128 v[0:3], v[14:15], off
	global_load_b32 v180, v[12:13], off offset:16
	global_load_b32 v179, v[14:15], off offset:16
	ds_load_2addr_b32 v[12:13], v91 offset0:104 offset1:164
	ds_load_2addr_b32 v[14:15], v92 offset0:80 offset1:140
	;; [unrolled: 1-line block ×3, first 2 shown]
	v_add_lshl_u32 v195, v8, v9, 2
	s_waitcnt lgkmcnt(2)
	v_lshrrev_b32_e32 v18, 16, v12
	s_waitcnt lgkmcnt(1)
	v_lshrrev_b32_e32 v19, 16, v14
	v_lshrrev_b32_e32 v20, 16, v13
	;; [unrolled: 1-line block ×3, first 2 shown]
	s_waitcnt lgkmcnt(0)
	v_lshrrev_b32_e32 v22, 16, v16
	s_waitcnt vmcnt(3)
	v_lshrrev_b32_e32 v246, 16, v4
	s_waitcnt vmcnt(2)
	v_lshrrev_b32_e32 v237, 16, v0
	v_lshrrev_b32_e32 v245, 16, v5
	;; [unrolled: 1-line block ×4, first 2 shown]
	v_mul_f16_e64 v10, v18, v246
	v_mul_f16_e64 v11, v20, v237
	;; [unrolled: 1-line block ×5, first 2 shown]
	v_mul_f16_e32 v24, v21, v25
	v_fma_f16 v65, v12, v4, -v10
	v_fma_f16 v66, v13, v0, -v11
	v_mul_f16_e64 v12, v14, v245
	v_mul_f16_e64 v10, v22, v244
	v_fma_f16 v13, v14, v5, -v23
	v_lshrrev_b32_e32 v14, 16, v17
	v_lshrrev_b32_e32 v240, 16, v2
	v_fma_f16 v67, v15, v1, -v24
	v_mul_f16_e32 v70, v15, v25
	v_fma_f16 v15, v16, v6, -v10
	v_lshrrev_b32_e32 v247, 16, v7
	v_mul_f16_e64 v10, v14, v240
	v_lshrrev_b32_e32 v243, 16, v3
	s_waitcnt vmcnt(1)
	v_lshrrev_b32_e32 v33, 16, v180
	s_waitcnt vmcnt(0)
	v_lshrrev_b32_e32 v32, 16, v179
	v_fmac_f16_e32 v64, v20, v0
	v_fma_f16 v23, v17, v2, -v10
	ds_load_2addr_b32 v[10:11], v94 offset0:160 offset1:220
	v_mul_f16_e64 v17, v17, v240
	v_fmac_f16_e32 v70, v21, v1
	v_fmac_f16_e32 v12, v19, v5
	v_add_f16_e32 v84, v66, v23
	v_mul_f16_e64 v16, v16, v244
	v_fmac_f16_e32 v17, v14, v2
	v_fmac_f16_e32 v63, v18, v4
	s_delay_alu instid0(VALU_DEP_3) | instskip(NEXT) | instid1(VALU_DEP_3)
	v_fmac_f16_e32 v16, v22, v6
	v_add_f16_e32 v87, v64, v17
	s_waitcnt lgkmcnt(0)
	v_lshrrev_b32_e32 v24, 16, v10
	v_lshrrev_b32_e32 v26, 16, v11
	v_mul_f16_e64 v79, v11, v243
	s_delay_alu instid0(VALU_DEP_3) | instskip(NEXT) | instid1(VALU_DEP_3)
	v_mul_f16_e64 v25, v24, v247
	v_mul_f16_e64 v27, v26, v243
	s_delay_alu instid0(VALU_DEP_3) | instskip(NEXT) | instid1(VALU_DEP_3)
	v_fmac_f16_e32 v79, v26, v3
	v_fma_f16 v25, v10, v7, -v25
	s_delay_alu instid0(VALU_DEP_3)
	v_fma_f16 v71, v11, v3, -v27
	v_mul_f16_e64 v27, v10, v247
	ds_load_2addr_b32 v[10:11], v103 offset0:8 offset1:68
	v_add_f16_e32 v9, v70, v79
	v_sub_f16_e32 v102, v13, v25
	v_add_f16_e32 v14, v67, v71
	v_fmac_f16_e32 v27, v24, v7
	s_delay_alu instid0(VALU_DEP_1) | instskip(SKIP_4) | instid1(VALU_DEP_3)
	v_sub_f16_e32 v105, v12, v27
	s_waitcnt lgkmcnt(0)
	v_lshrrev_b32_e32 v28, 16, v10
	v_lshrrev_b32_e32 v30, 16, v11
	v_mul_f16_e32 v81, v11, v32
	v_mul_f16_e32 v29, v28, v33
	s_delay_alu instid0(VALU_DEP_3) | instskip(NEXT) | instid1(VALU_DEP_3)
	v_mul_f16_e32 v31, v30, v32
	v_fmac_f16_e64 v81, v30, v179
	s_delay_alu instid0(VALU_DEP_3) | instskip(NEXT) | instid1(VALU_DEP_3)
	v_fma_f16 v29, v10, v180, -v29
	v_fma_f16 v80, v11, v179, -v31
	v_mul_f16_e32 v31, v10, v33
	ds_load_2addr_b32 v[10:11], v115 offset1:60
	v_sub_f16_e32 v107, v15, v29
	v_fmac_f16_e64 v31, v28, v180
	s_delay_alu instid0(VALU_DEP_1)
	v_sub_f16_e32 v109, v16, v31
	s_waitcnt lgkmcnt(0)
	v_lshrrev_b32_e32 v82, 16, v11
	v_add_f16_e32 v83, v11, v67
	v_fmac_f16_e32 v11, -0.5, v14
	v_add_f16_e32 v14, v23, v80
	v_lshrrev_b32_e32 v101, 16, v10
	v_add_f16_e32 v8, v82, v70
	v_fmac_f16_e32 v82, -0.5, v9
	s_delay_alu instid0(VALU_DEP_4) | instskip(SKIP_1) | instid1(VALU_DEP_4)
	v_fmac_f16_e32 v66, -0.5, v14
	v_add_f16_e32 v14, v17, v81
	v_add_f16_e32 v8, v8, v79
	s_delay_alu instid0(VALU_DEP_2) | instskip(SKIP_1) | instid1(VALU_DEP_1)
	v_fmac_f16_e32 v64, -0.5, v14
	v_sub_f16_e32 v14, v70, v79
	v_fmamk_f16 v88, v14, 0x3aee, v11
	v_fmac_f16_e32 v11, 0xbaee, v14
	v_sub_f16_e32 v14, v17, v81
	v_add_f16_e32 v17, v13, v25
	s_delay_alu instid0(VALU_DEP_2) | instskip(NEXT) | instid1(VALU_DEP_2)
	v_fmamk_f16 v90, v14, 0x3aee, v66
	v_fma_f16 v96, -0.5, v17, v10
	v_add_f16_e32 v10, v10, v13
	v_fmac_f16_e32 v66, 0xbaee, v14
	v_sub_f16_e32 v14, v23, v80
	v_add_f16_e32 v13, v16, v31
	v_fmamk_f16 v114, v105, 0x3aee, v96
	v_add_f16_e32 v104, v10, v25
	v_add_f16_e32 v10, v101, v12
	v_fmamk_f16 v95, v14, 0xbaee, v64
	v_fmac_f16_e32 v64, 0x3aee, v14
	v_mul_f16_e32 v14, -0.5, v66
	v_fmac_f16_e32 v96, 0xbaee, v105
	v_add_f16_e32 v106, v10, v27
	v_add_f16_e32 v10, v65, v15
	v_mul_f16_e32 v70, 0xbaee, v90
	v_fmac_f16_e32 v14, 0x3aee, v64
	s_delay_alu instid0(VALU_DEP_3) | instskip(SKIP_1) | instid1(VALU_DEP_3)
	v_add_f16_e32 v108, v10, v29
	v_add_f16_e32 v10, v63, v16
	v_add_f16_e32 v99, v11, v14
	v_sub_f16_e32 v100, v11, v14
	v_add_f16_e32 v11, v12, v27
	v_add_f16_e32 v12, v15, v29
	;; [unrolled: 1-line block ×3, first 2 shown]
	v_fmac_f16_e32 v63, -0.5, v13
	v_add_f16_e32 v10, v104, v108
	v_fmac_f16_e32 v101, -0.5, v11
	v_fmac_f16_e32 v65, -0.5, v12
	v_add_f16_e32 v11, v106, v110
	v_and_b32_e32 v14, 0xff, v41
	v_and_b32_e32 v15, 0xff, v40
	v_fmamk_f16 v116, v102, 0xbaee, v101
	v_add_nc_u32_e32 v12, 0xf0, v174
	v_pack_b32_f16 v111, v10, v11
	v_fmamk_f16 v10, v107, 0xbaee, v63
	v_fmamk_f16 v11, v109, 0x3aee, v65
	v_fmac_f16_e32 v65, 0xbaee, v109
	v_and_b32_e32 v13, 0xffff, v12
	v_fmac_f16_e32 v101, 0x3aee, v102
	v_mul_f16_e32 v112, 0x3aee, v10
	v_mul_f16_e32 v113, 0xbaee, v11
	v_fmac_f16_e32 v63, 0x3aee, v107
	v_mul_f16_e32 v102, -0.5, v65
	v_fmac_f16_e32 v70, 0.5, v95
	v_fmac_f16_e32 v112, 0.5, v11
	;; [unrolled: 1-line block ×3, first 2 shown]
	s_delay_alu instid0(VALU_DEP_4) | instskip(SKIP_1) | instid1(VALU_DEP_4)
	v_fmac_f16_e32 v102, 0x3aee, v63
	v_mul_f16_e32 v63, -0.5, v63
	v_add_f16_e32 v10, v114, v112
	s_delay_alu instid0(VALU_DEP_4) | instskip(NEXT) | instid1(VALU_DEP_3)
	v_add_f16_e32 v11, v116, v113
	v_fmac_f16_e32 v63, 0xbaee, v65
	s_delay_alu instid0(VALU_DEP_2) | instskip(SKIP_1) | instid1(VALU_DEP_3)
	v_pack_b32_f16 v117, v10, v11
	v_mul_lo_u16 v10, 0xcd, v14
	v_add_f16_e32 v65, v101, v63
	v_sub_f16_e32 v63, v101, v63
	s_delay_alu instid0(VALU_DEP_3) | instskip(SKIP_1) | instid1(VALU_DEP_1)
	v_lshrrev_b16 v118, 11, v10
	v_mul_lo_u16 v10, 0xcd, v15
	v_lshrrev_b16 v120, 11, v10
	v_mul_u32_u24_e32 v10, 0xcccd, v13
	s_delay_alu instid0(VALU_DEP_1) | instskip(SKIP_1) | instid1(VALU_DEP_1)
	v_lshrrev_b32_e32 v122, 19, v10
	v_mul_lo_u16 v10, v118, 10
	v_sub_nc_u16 v17, v41, v10
	v_mul_lo_u16 v10, v120, 10
	s_delay_alu instid0(VALU_DEP_2) | instskip(NEXT) | instid1(VALU_DEP_2)
	v_and_b32_e32 v119, 0xff, v17
	v_sub_nc_u16 v18, v40, v10
	v_add_nc_u32_e32 v10, 0x12c, v174
	v_mul_lo_u16 v17, v122, 10
	s_delay_alu instid0(VALU_DEP_4) | instskip(NEXT) | instid1(VALU_DEP_3)
	v_mad_u64_u32 v[24:25], null, v119, 20, s[0:1]
	v_and_b32_e32 v11, 0xffff, v10
	s_delay_alu instid0(VALU_DEP_3) | instskip(SKIP_1) | instid1(VALU_DEP_3)
	v_sub_nc_u16 v124, v12, v17
	v_and_b32_e32 v123, 0xff, v18
	v_mul_u32_u24_e32 v16, 0xcccd, v11
	s_delay_alu instid0(VALU_DEP_3) | instskip(NEXT) | instid1(VALU_DEP_3)
	v_mul_lo_u16 v18, v124, 20
	v_mad_u64_u32 v[22:23], null, v123, 20, s[0:1]
	s_delay_alu instid0(VALU_DEP_3) | instskip(NEXT) | instid1(VALU_DEP_3)
	v_lshrrev_b32_e32 v16, 19, v16
	v_and_b32_e32 v18, 0xffff, v18
	s_delay_alu instid0(VALU_DEP_2) | instskip(NEXT) | instid1(VALU_DEP_2)
	v_mul_lo_u16 v17, v16, 10
	v_add_co_u32 v18, s2, s0, v18
	s_delay_alu instid0(VALU_DEP_2) | instskip(NEXT) | instid1(VALU_DEP_1)
	v_sub_nc_u16 v17, v10, v17
	v_mul_lo_u16 v19, v17, 20
	v_mad_u16 v16, v16, 60, v17
	s_delay_alu instid0(VALU_DEP_2) | instskip(SKIP_1) | instid1(VALU_DEP_3)
	v_and_b32_e32 v20, 0xffff, v19
	v_add_co_ci_u32_e64 v19, null, s1, 0, s2
	v_and_b32_e32 v16, 0xffff, v16
	s_delay_alu instid0(VALU_DEP_3) | instskip(NEXT) | instid1(VALU_DEP_1)
	v_add_co_u32 v20, s2, s0, v20
	v_add_co_ci_u32_e64 v21, null, s1, 0, s2
	s_clause 0x5
	global_load_b32 v188, v[22:23], off offset:16
	global_load_b32 v187, v[18:19], off offset:16
	;; [unrolled: 1-line block ×4, first 2 shown]
	global_load_b128 v[32:35], v[24:25], off
	global_load_b128 v[28:31], v[22:23], off
	ds_load_2addr_b32 v[36:37], v115 offset0:120 offset1:180
	ds_load_2addr_b32 v[38:39], v89 offset0:96 offset1:156
	ds_load_2addr_b32 v[42:43], v97 offset0:72 offset1:132
	ds_load_2addr_b32 v[44:45], v93 offset0:176 offset1:236
	ds_load_2addr_b32 v[46:47], v130 offset0:24 offset1:84
	ds_load_2addr_b32 v[48:49], v103 offset0:128 offset1:188
	ds_load_2addr_b32 v[50:51], v86 offset0:112 offset1:172
	ds_load_2addr_b32 v[52:53], v98 offset0:88 offset1:148
	ds_load_2addr_b32 v[54:55], v97 offset0:192 offset1:252
	ds_load_2addr_b32 v[56:57], v94 offset0:40 offset1:100
	ds_load_2addr_b32 v[58:59], v130 offset0:144 offset1:204
	ds_load_2addr_b32 v[61:62], v131 offset0:120 offset1:180
	s_clause 0x1
	global_load_b128 v[24:27], v[18:19], off
	global_load_b128 v[20:23], v[20:21], off
	v_sub_f16_e32 v18, v104, v108
	v_sub_f16_e32 v19, v106, v110
	s_waitcnt vmcnt(0) lgkmcnt(0)
	s_barrier
	buffer_gl0_inv
	ds_store_2addr_b32 v198, v111, v117 offset1:10
	v_pack_b32_f16 v18, v18, v19
	v_add_f16_e32 v19, v96, v102
	v_lshlrev_b32_e32 v207, 2, v16
	s_delay_alu instid0(VALU_DEP_2) | instskip(SKIP_4) | instid1(VALU_DEP_2)
	v_pack_b32_f16 v19, v19, v65
	v_sub_f16_e32 v65, v116, v113
	ds_store_2addr_b32 v198, v19, v18 offset0:20 offset1:30
	v_sub_f16_e32 v18, v114, v112
	v_sub_f16_e32 v19, v96, v102
	v_pack_b32_f16 v18, v18, v65
	s_delay_alu instid0(VALU_DEP_2)
	v_pack_b32_f16 v19, v19, v63
	v_add_f16_e32 v63, v83, v71
	v_sub_f16_e32 v65, v67, v71
	ds_store_2addr_b32 v198, v18, v19 offset0:40 offset1:50
	v_add_f16_e32 v18, v84, v80
	v_add_f16_e32 v19, v87, v81
	v_fmamk_f16 v71, v65, 0xbaee, v82
	v_fmac_f16_e32 v82, 0x3aee, v65
	v_lshrrev_b32_e32 v65, 16, v43
	v_add_f16_e32 v9, v63, v18
	v_add_f16_e32 v67, v8, v19
	;; [unrolled: 1-line block ×3, first 2 shown]
	v_sub_f16_e32 v8, v8, v19
	v_lshrrev_b32_e32 v84, 16, v48
	s_delay_alu instid0(VALU_DEP_4) | instskip(SKIP_1) | instid1(VALU_DEP_1)
	v_pack_b32_f16 v9, v9, v67
	v_mul_f16_e32 v67, 0x3aee, v95
	v_fmac_f16_e32 v67, 0.5, v90
	s_delay_alu instid0(VALU_DEP_1) | instskip(NEXT) | instid1(VALU_DEP_1)
	v_add_f16_e32 v79, v88, v67
	v_pack_b32_f16 v79, v79, v80
	v_lshrrev_b32_e32 v80, 16, v46
	ds_store_2addr_b32 v195, v9, v79 offset1:10
	v_sub_f16_e32 v9, v63, v18
	v_mul_f16_e32 v18, -0.5, v64
	v_lshrrev_b32_e32 v63, 16, v42
	s_delay_alu instid0(VALU_DEP_3) | instskip(NEXT) | instid1(VALU_DEP_3)
	v_pack_b32_f16 v8, v9, v8
	v_fmac_f16_e32 v18, 0xbaee, v66
	s_delay_alu instid0(VALU_DEP_1) | instskip(SKIP_2) | instid1(VALU_DEP_3)
	v_add_f16_e32 v9, v82, v18
	v_sub_f16_e32 v18, v82, v18
	v_lshrrev_b32_e32 v82, 16, v47
	v_pack_b32_f16 v9, v99, v9
	ds_store_2addr_b32 v195, v9, v8 offset0:20 offset1:30
	v_sub_f16_e32 v8, v88, v67
	v_sub_f16_e32 v9, v71, v70
	v_lshrrev_b32_e32 v71, 16, v45
	v_lshrrev_b32_e32 v88, 16, v49
	;; [unrolled: 1-line block ×3, first 2 shown]
	s_delay_alu instid0(VALU_DEP_4) | instskip(SKIP_4) | instid1(VALU_DEP_1)
	v_pack_b32_f16 v8, v8, v9
	v_pack_b32_f16 v9, v100, v18
	v_lshrrev_b32_e32 v18, 16, v39
	ds_store_2addr_b32 v195, v8, v9 offset0:40 offset1:50
	v_and_b32_e32 v8, 0xffff, v118
	v_mul_u32_u24_e32 v8, 60, v8
	s_delay_alu instid0(VALU_DEP_1)
	v_add_lshl_u32 v193, v8, v119, 2
	v_lshrrev_b32_e32 v8, 16, v38
	v_lshrrev_b32_e32 v95, 16, v188
	;; [unrolled: 1-line block ×8, first 2 shown]
	v_mul_f16_e64 v9, v8, v255
	v_mul_f16_e64 v66, v65, v252
	v_lshrrev_b32_e32 v253, 16, v30
	v_mul_f16_e64 v83, v82, v254
	v_mul_f16_e64 v19, v18, v251
	v_fma_f16 v9, v38, v32, -v9
	v_mul_f16_e64 v38, v38, v255
	v_mul_f16_e32 v64, v63, v117
	v_fma_f16 v66, v43, v29, -v66
	v_mul_f16_e64 v79, v71, v253
	v_fma_f16 v83, v47, v31, -v83
	v_mul_f16_e32 v90, v88, v95
	v_fma_f16 v19, v39, v28, -v19
	v_mul_f16_e64 v39, v39, v251
	v_fma_f16 v64, v42, v33, -v64
	;; [unrolled: 4-line block ×3, first 2 shown]
	v_mul_f16_e32 v49, v49, v95
	v_fmac_f16_e32 v38, v8, v32
	v_add_f16_e32 v8, v66, v83
	v_mul_f16_e64 v43, v43, v252
	v_mul_f16_e64 v47, v47, v254
	v_fmac_f16_e32 v42, v63, v33
	v_fmac_f16_e32 v39, v18, v28
	;; [unrolled: 1-line block ×3, first 2 shown]
	v_fmac_f16_e64 v49, v88, v188
	v_lshrrev_b32_e32 v18, 16, v37
	v_add_f16_e32 v63, v37, v66
	v_fmac_f16_e32 v37, -0.5, v8
	v_add_f16_e32 v8, v79, v90
	v_fmac_f16_e32 v43, v65, v29
	v_fmac_f16_e32 v47, v82, v31
	v_add_f16_e32 v65, v19, v79
	v_add_f16_e32 v71, v39, v45
	v_fmac_f16_e32 v19, -0.5, v8
	v_add_f16_e32 v8, v45, v49
	v_lshrrev_b32_e32 v119, 16, v34
	v_lshrrev_b32_e32 v121, 16, v35
	v_mul_f16_e32 v87, v84, v96
	v_lshrrev_b32_e32 v134, 16, v24
	v_fmac_f16_e32 v39, -0.5, v8
	v_sub_f16_e32 v8, v43, v47
	v_mul_f16_e32 v70, v67, v119
	v_mul_f16_e32 v81, v80, v121
	v_fma_f16 v87, v48, v190, -v87
	v_mul_f16_e32 v48, v48, v96
	v_fmamk_f16 v82, v8, 0x3aee, v37
	v_fmac_f16_e32 v37, 0xbaee, v8
	v_sub_f16_e32 v8, v45, v49
	v_fma_f16 v70, v44, v34, -v70
	v_mul_f16_e32 v44, v44, v119
	v_fma_f16 v81, v46, v35, -v81
	v_mul_f16_e32 v46, v46, v121
	v_fmamk_f16 v45, v8, 0x3aee, v19
	v_fmac_f16_e32 v19, 0xbaee, v8
	v_sub_f16_e32 v8, v79, v90
	v_add_f16_e32 v88, v64, v81
	v_fmac_f16_e32 v44, v67, v34
	v_fmac_f16_e32 v46, v80, v35
	v_fmac_f16_e64 v48, v84, v190
	v_fmamk_f16 v79, v8, 0xbaee, v39
	v_fmac_f16_e32 v39, 0x3aee, v8
	v_mul_f16_e32 v8, -0.5, v19
	v_fma_f16 v88, -0.5, v88, v36
	v_sub_f16_e32 v80, v42, v46
	v_add_f16_e32 v84, v38, v44
	v_lshrrev_b32_e32 v136, 16, v26
	v_fmac_f16_e32 v8, 0x3aee, v39
	v_lshrrev_b32_e32 v125, 16, v20
	v_lshrrev_b32_e32 v129, 16, v22
	;; [unrolled: 1-line block ×4, first 2 shown]
	v_add_f16_e32 v95, v37, v8
	v_sub_f16_e32 v8, v37, v8
	v_lshrrev_b32_e32 v37, 16, v36
	v_add_f16_e32 v36, v36, v64
	v_sub_f16_e32 v64, v64, v81
	v_lshrrev_b32_e32 v135, 16, v25
	v_lshrrev_b32_e32 v137, 16, v27
	v_add_f16_e32 v67, v37, v42
	v_add_f16_e32 v42, v42, v46
	;; [unrolled: 1-line block ×4, first 2 shown]
	s_delay_alu instid0(VALU_DEP_4) | instskip(SKIP_4) | instid1(VALU_DEP_4)
	v_add_f16_e32 v46, v67, v46
	v_add_f16_e32 v67, v9, v70
	v_sub_f16_e32 v70, v70, v87
	v_fmac_f16_e32 v37, -0.5, v42
	v_fmac_f16_e32 v9, -0.5, v81
	v_add_f16_e32 v67, v67, v87
	v_add_f16_e32 v87, v44, v48
	v_sub_f16_e32 v44, v44, v48
	v_add_f16_e32 v48, v84, v48
	v_fmamk_f16 v96, v64, 0xbaee, v37
	v_add_f16_e32 v42, v36, v67
	v_fmac_f16_e32 v38, -0.5, v87
	v_fmamk_f16 v84, v44, 0x3aee, v9
	v_add_f16_e32 v81, v46, v48
	v_fmac_f16_e32 v9, 0xbaee, v44
	v_fmac_f16_e32 v37, 0x3aee, v64
	s_delay_alu instid0(VALU_DEP_3) | instskip(SKIP_3) | instid1(VALU_DEP_3)
	v_pack_b32_f16 v42, v42, v81
	v_fmamk_f16 v81, v70, 0xbaee, v38
	v_fmac_f16_e32 v38, 0x3aee, v70
	v_lshrrev_b32_e32 v70, 16, v187
	v_mul_f16_e32 v87, 0x3aee, v81
	s_delay_alu instid0(VALU_DEP_1) | instskip(SKIP_1) | instid1(VALU_DEP_1)
	v_fmac_f16_e32 v87, 0.5, v84
	v_mul_f16_e32 v84, 0xbaee, v84
	v_fmac_f16_e32 v84, 0.5, v81
	v_fmamk_f16 v81, v80, 0x3aee, v88
	v_fmac_f16_e32 v88, 0xbaee, v80
	s_delay_alu instid0(VALU_DEP_3) | instskip(NEXT) | instid1(VALU_DEP_3)
	v_add_f16_e32 v100, v96, v84
	v_add_f16_e32 v99, v81, v87
	s_delay_alu instid0(VALU_DEP_1) | instskip(SKIP_2) | instid1(VALU_DEP_1)
	v_pack_b32_f16 v99, v99, v100
	ds_store_2addr_b32 v193, v42, v99 offset1:10
	v_mul_f16_e32 v42, -0.5, v9
	v_fmac_f16_e32 v42, 0x3aee, v38
	v_mul_f16_e32 v38, -0.5, v38
	s_delay_alu instid0(VALU_DEP_2) | instskip(NEXT) | instid1(VALU_DEP_2)
	v_add_f16_e32 v44, v88, v42
	v_fmac_f16_e32 v38, 0xbaee, v9
	v_sub_f16_e32 v9, v36, v67
	v_sub_f16_e32 v36, v46, v48
	v_lshrrev_b32_e32 v67, 16, v186
	s_delay_alu instid0(VALU_DEP_4) | instskip(SKIP_1) | instid1(VALU_DEP_4)
	v_add_f16_e32 v46, v37, v38
	v_sub_f16_e32 v37, v37, v38
	v_pack_b32_f16 v9, v9, v36
	v_sub_f16_e32 v36, v88, v42
	v_sub_f16_e32 v42, v96, v84
	v_pack_b32_f16 v44, v44, v46
	v_add_f16_e32 v38, v65, v90
	v_lshrrev_b32_e32 v65, 16, v62
	v_pack_b32_f16 v36, v36, v37
	v_sub_f16_e32 v37, v66, v83
	ds_store_2addr_b32 v193, v44, v9 offset0:20 offset1:30
	v_sub_f16_e32 v9, v81, v87
	v_mul_f16_e32 v44, 0xbaee, v45
	v_mul_f16_e32 v66, v65, v67
	s_delay_alu instid0(VALU_DEP_3) | instskip(SKIP_1) | instid1(VALU_DEP_4)
	v_pack_b32_f16 v9, v9, v42
	v_add_f16_e32 v42, v71, v49
	v_fmac_f16_e32 v44, 0.5, v79
	s_delay_alu instid0(VALU_DEP_4)
	v_fma_f16 v66, v62, v186, -v66
	v_mul_f16_e32 v62, v62, v67
	ds_store_2addr_b32 v193, v9, v36 offset0:40 offset1:50
	v_add_f16_e32 v9, v43, v47
	v_add_f16_e32 v36, v18, v43
	v_mul_f16_e32 v43, 0x3aee, v79
	v_fmac_f16_e64 v62, v65, v186
	s_delay_alu instid0(VALU_DEP_4) | instskip(SKIP_1) | instid1(VALU_DEP_4)
	v_fmac_f16_e32 v18, -0.5, v9
	v_add_f16_e32 v9, v63, v83
	v_fmac_f16_e32 v43, 0.5, v45
	v_and_b32_e32 v45, 0xffff, v120
	v_add_f16_e32 v36, v36, v47
	v_lshrrev_b32_e32 v63, 16, v61
	s_delay_alu instid0(VALU_DEP_4) | instskip(NEXT) | instid1(VALU_DEP_4)
	v_add_f16_e32 v47, v82, v43
	v_mul_u32_u24_e32 v45, 60, v45
	s_delay_alu instid0(VALU_DEP_4) | instskip(NEXT) | instid1(VALU_DEP_4)
	v_add_f16_e32 v46, v36, v42
	v_mul_f16_e32 v64, v63, v70
	s_delay_alu instid0(VALU_DEP_3)
	v_add_lshl_u32 v199, v45, v123, 2
	v_add_f16_e32 v45, v9, v38
	v_sub_f16_e32 v9, v9, v38
	v_lshrrev_b32_e32 v38, 16, v54
	v_fma_f16 v64, v61, v187, -v64
	v_mul_f16_e32 v61, v61, v70
	v_pack_b32_f16 v45, v45, v46
	v_fmamk_f16 v46, v37, 0xbaee, v18
	v_fmac_f16_e32 v18, 0x3aee, v37
	v_mul_f16_e32 v37, -0.5, v39
	v_mul_f16_e64 v39, v38, v135
	v_fmac_f16_e64 v61, v63, v187
	v_add_f16_e32 v48, v46, v44
	s_delay_alu instid0(VALU_DEP_4) | instskip(SKIP_2) | instid1(VALU_DEP_4)
	v_fmac_f16_e32 v37, 0xbaee, v19
	v_sub_f16_e32 v19, v36, v42
	v_lshrrev_b32_e32 v42, 16, v55
	v_pack_b32_f16 v47, v47, v48
	v_lshrrev_b32_e32 v48, 16, v57
	v_add_f16_e32 v36, v18, v37
	v_pack_b32_f16 v9, v9, v19
	v_sub_f16_e32 v19, v46, v44
	v_sub_f16_e32 v18, v18, v37
	v_lshrrev_b32_e32 v46, 16, v56
	v_pack_b32_f16 v36, v95, v36
	ds_store_2addr_b32 v199, v45, v47 offset1:10
	v_mul_f16_e64 v49, v48, v129
	v_pack_b32_f16 v8, v8, v18
	v_lshrrev_b32_e32 v18, 16, v53
	ds_store_2addr_b32 v199, v36, v9 offset0:20 offset1:30
	v_sub_f16_e32 v9, v82, v43
	v_mul_f16_e64 v47, v46, v136
	v_mul_f16_e64 v36, v52, v134
	v_mul_f16_e32 v37, v53, v125
	v_mul_f16_e32 v43, v42, v126
	v_pack_b32_f16 v9, v9, v19
	v_mul_f16_e32 v19, v18, v125
	v_fma_f16 v47, v56, v26, -v47
	v_fma_f16 v49, v57, v22, -v49
	;; [unrolled: 1-line block ×3, first 2 shown]
	ds_store_2addr_b32 v199, v9, v8 offset0:40 offset1:50
	v_lshrrev_b32_e32 v8, 16, v52
	v_fma_f16 v19, v53, v20, -v19
	v_mul_f16_e64 v53, v57, v129
	v_mul_f16_e64 v44, v54, v135
	v_mul_f16_e32 v45, v55, v126
	v_mul_f16_e64 v9, v8, v134
	v_fmac_f16_e32 v36, v8, v24
	v_fmac_f16_e32 v37, v18, v20
	;; [unrolled: 1-line block ×4, first 2 shown]
	v_fma_f16 v9, v52, v24, -v9
	v_mul_f16_e64 v52, v56, v136
	v_lshrrev_b32_e32 v56, 16, v59
	v_lshrrev_b32_e32 v18, 16, v51
	v_add_f16_e32 v38, v51, v43
	v_fmac_f16_e32 v45, v42, v21
	v_add_f16_e32 v42, v19, v49
	v_mul_f16_e64 v57, v56, v181
	v_fmac_f16_e32 v52, v46, v26
	v_add_f16_e32 v46, v37, v53
	v_fma_f16 v39, v54, v25, -v39
	v_lshrrev_b32_e32 v54, 16, v58
	v_fma_f16 v57, v59, v23, -v57
	v_mul_f16_e64 v59, v59, v181
	v_add_f16_e32 v67, v36, v52
	s_delay_alu instid0(VALU_DEP_4) | instskip(NEXT) | instid1(VALU_DEP_4)
	v_mul_f16_e64 v55, v54, v137
	v_add_f16_e32 v8, v43, v57
	s_delay_alu instid0(VALU_DEP_4) | instskip(NEXT) | instid1(VALU_DEP_3)
	v_fmac_f16_e32 v59, v56, v23
	v_fma_f16 v55, v58, v27, -v55
	s_delay_alu instid0(VALU_DEP_3) | instskip(SKIP_2) | instid1(VALU_DEP_2)
	v_fmac_f16_e32 v51, -0.5, v8
	v_add_f16_e32 v8, v49, v66
	v_mul_f16_e64 v58, v58, v137
	v_fmac_f16_e32 v19, -0.5, v8
	v_add_f16_e32 v8, v53, v62
	s_delay_alu instid0(VALU_DEP_3) | instskip(SKIP_1) | instid1(VALU_DEP_3)
	v_fmac_f16_e32 v58, v54, v27
	v_add_f16_e32 v54, v39, v55
	v_fmac_f16_e32 v37, -0.5, v8
	v_sub_f16_e32 v8, v45, v59
	s_delay_alu instid0(VALU_DEP_3) | instskip(SKIP_1) | instid1(VALU_DEP_3)
	v_fma_f16 v54, -0.5, v54, v50
	v_add_f16_e32 v63, v44, v58
	v_fmamk_f16 v48, v8, 0x3aee, v51
	v_fmac_f16_e32 v51, 0xbaee, v8
	v_sub_f16_e32 v8, v53, v62
	s_delay_alu instid0(VALU_DEP_1) | instskip(SKIP_2) | instid1(VALU_DEP_1)
	v_fmamk_f16 v53, v8, 0x3aee, v19
	v_fmac_f16_e32 v19, 0xbaee, v8
	v_sub_f16_e32 v8, v49, v66
	v_fmamk_f16 v49, v8, 0xbaee, v37
	v_fmac_f16_e32 v37, 0x3aee, v8
	s_delay_alu instid0(VALU_DEP_4) | instskip(NEXT) | instid1(VALU_DEP_2)
	v_mul_f16_e32 v8, -0.5, v19
	v_mul_f16_e32 v16, -0.5, v37
	s_delay_alu instid0(VALU_DEP_2) | instskip(NEXT) | instid1(VALU_DEP_2)
	v_fmac_f16_e32 v8, 0x3aee, v37
	v_fmac_f16_e32 v16, 0xbaee, v19
	s_delay_alu instid0(VALU_DEP_2) | instskip(SKIP_4) | instid1(VALU_DEP_3)
	v_add_f16_e32 v56, v51, v8
	v_sub_f16_e32 v8, v51, v8
	v_lshrrev_b32_e32 v51, 16, v50
	v_add_f16_e32 v50, v50, v39
	v_sub_f16_e32 v39, v39, v55
	v_add_f16_e32 v65, v51, v44
	s_delay_alu instid0(VALU_DEP_3)
	v_add_f16_e32 v50, v50, v55
	v_add_f16_e32 v55, v47, v64
	v_fmac_f16_e32 v51, -0.5, v63
	v_add_f16_e32 v63, v9, v47
	v_sub_f16_e32 v47, v47, v64
	v_sub_f16_e32 v44, v44, v58
	v_fmac_f16_e32 v9, -0.5, v55
	v_add_f16_e32 v55, v52, v61
	v_sub_f16_e32 v52, v52, v61
	v_add_f16_e32 v61, v67, v61
	v_fmamk_f16 v71, v39, 0xbaee, v51
	v_fmac_f16_e32 v51, 0x3aee, v39
	v_fmac_f16_e32 v36, -0.5, v55
	v_add_f16_e32 v55, v65, v58
	v_add_f16_e32 v58, v63, v64
	v_fmamk_f16 v64, v52, 0x3aee, v9
	v_fmac_f16_e32 v9, 0xbaee, v52
	v_fmamk_f16 v63, v47, 0xbaee, v36
	v_fmac_f16_e32 v36, 0x3aee, v47
	v_add_f16_e32 v67, v50, v58
	v_add_f16_e32 v70, v55, v61
	v_mul_f16_e32 v39, -0.5, v9
	v_mul_f16_e32 v65, 0x3aee, v63
	s_delay_alu instid0(VALU_DEP_3) | instskip(NEXT) | instid1(VALU_DEP_3)
	v_pack_b32_f16 v67, v67, v70
	v_fmac_f16_e32 v39, 0x3aee, v36
	s_delay_alu instid0(VALU_DEP_3)
	v_fmac_f16_e32 v65, 0.5, v64
	v_mul_f16_e32 v64, 0xbaee, v64
	v_mul_f16_e32 v36, -0.5, v36
	v_fmamk_f16 v70, v44, 0x3aee, v54
	v_fmac_f16_e32 v54, 0xbaee, v44
	v_sub_f16_e32 v44, v55, v61
	v_fmac_f16_e32 v64, 0.5, v63
	v_mad_u16 v63, v122, 60, v124
	v_fmac_f16_e32 v36, 0xbaee, v9
	v_sub_f16_e32 v9, v50, v58
	v_add_f16_e32 v47, v54, v39
	v_sub_f16_e32 v39, v54, v39
	v_and_b32_e32 v63, 0xffff, v63
	v_add_f16_e32 v50, v51, v36
	v_pack_b32_f16 v9, v9, v44
	v_sub_f16_e32 v44, v71, v64
	v_sub_f16_e32 v36, v51, v36
	v_lshlrev_b32_e32 v205, 2, v63
	v_pack_b32_f16 v47, v47, v50
	v_add_f16_e32 v79, v70, v65
	v_add_f16_e32 v80, v71, v64
	v_pack_b32_f16 v36, v39, v36
	v_add_f16_e32 v39, v42, v66
	ds_store_2addr_b32 v205, v47, v9 offset0:20 offset1:30
	v_sub_f16_e32 v9, v70, v65
	v_add_f16_e32 v42, v46, v62
	v_pack_b32_f16 v79, v79, v80
	s_delay_alu instid0(VALU_DEP_3)
	v_pack_b32_f16 v9, v9, v44
	v_mul_f16_e32 v44, 0xbaee, v53
	ds_store_2addr_b32 v205, v67, v79 offset1:10
	ds_store_2addr_b32 v205, v9, v36 offset0:40 offset1:50
	v_add_f16_e32 v9, v45, v59
	v_add_f16_e32 v36, v18, v45
	v_fmac_f16_e32 v44, 0.5, v49
	s_delay_alu instid0(VALU_DEP_3) | instskip(SKIP_1) | instid1(VALU_DEP_4)
	v_fmac_f16_e32 v18, -0.5, v9
	v_add_f16_e32 v9, v38, v57
	v_add_f16_e32 v36, v36, v59
	v_sub_f16_e32 v38, v43, v57
	v_mul_f16_e32 v43, 0x3aee, v49
	s_delay_alu instid0(VALU_DEP_4) | instskip(NEXT) | instid1(VALU_DEP_4)
	v_add_f16_e32 v17, v9, v39
	v_add_f16_e32 v45, v36, v42
	v_sub_f16_e32 v9, v9, v39
	s_delay_alu instid0(VALU_DEP_4) | instskip(NEXT) | instid1(VALU_DEP_3)
	v_fmac_f16_e32 v43, 0.5, v53
	v_pack_b32_f16 v17, v17, v45
	v_fmamk_f16 v45, v38, 0xbaee, v18
	s_delay_alu instid0(VALU_DEP_3) | instskip(SKIP_1) | instid1(VALU_DEP_3)
	v_add_f16_e32 v46, v48, v43
	v_fmac_f16_e32 v18, 0x3aee, v38
	v_add_f16_e32 v47, v45, v44
	s_delay_alu instid0(VALU_DEP_2) | instskip(SKIP_1) | instid1(VALU_DEP_3)
	v_add_f16_e32 v19, v18, v16
	v_sub_f16_e32 v16, v18, v16
	v_pack_b32_f16 v46, v46, v47
	s_delay_alu instid0(VALU_DEP_3) | instskip(NEXT) | instid1(VALU_DEP_3)
	v_pack_b32_f16 v19, v56, v19
	v_pack_b32_f16 v8, v8, v16
	ds_store_2addr_b32 v207, v17, v46 offset1:10
	v_sub_f16_e32 v17, v36, v42
	s_delay_alu instid0(VALU_DEP_1) | instskip(SKIP_3) | instid1(VALU_DEP_1)
	v_pack_b32_f16 v9, v9, v17
	v_sub_f16_e32 v17, v45, v44
	ds_store_2addr_b32 v207, v19, v9 offset0:20 offset1:30
	v_sub_f16_e32 v9, v48, v43
	v_pack_b32_f16 v9, v9, v17
	ds_store_2addr_b32 v207, v9, v8 offset0:40 offset1:50
	v_mul_lo_u16 v8, 0x89, v14
	s_waitcnt lgkmcnt(0)
	s_barrier
	buffer_gl0_inv
	ds_load_2addr_b32 v[16:17], v91 offset0:104 offset1:164
	v_lshrrev_b16 v8, 13, v8
	s_delay_alu instid0(VALU_DEP_1) | instskip(NEXT) | instid1(VALU_DEP_1)
	v_mul_lo_u16 v8, v8, 60
	v_sub_nc_u16 v14, v41, v8
	v_mul_lo_u16 v8, 0x89, v15
	s_delay_alu instid0(VALU_DEP_2) | instskip(NEXT) | instid1(VALU_DEP_2)
	v_and_b32_e32 v142, 0xff, v14
	v_lshrrev_b16 v8, 13, v8
	s_waitcnt lgkmcnt(0)
	v_lshrrev_b32_e32 v18, 16, v16
	s_delay_alu instid0(VALU_DEP_2) | instskip(NEXT) | instid1(VALU_DEP_1)
	v_mul_lo_u16 v8, v8, 60
	v_sub_nc_u16 v15, v40, v8
	v_mul_u32_u24_e32 v8, 0x8889, v13
	s_delay_alu instid0(VALU_DEP_2) | instskip(NEXT) | instid1(VALU_DEP_2)
	v_and_b32_e32 v83, 0xff, v15
	v_lshrrev_b32_e32 v8, 21, v8
	s_delay_alu instid0(VALU_DEP_1) | instskip(NEXT) | instid1(VALU_DEP_1)
	v_mul_lo_u16 v8, v8, 60
	v_sub_nc_u16 v62, v12, v8
	v_mul_u32_u24_e32 v8, 0x8889, v11
	v_mad_u64_u32 v[12:13], null, v174, 20, s[0:1]
	s_delay_alu instid0(VALU_DEP_3) | instskip(NEXT) | instid1(VALU_DEP_3)
	v_mul_lo_u16 v14, v62, 20
	v_lshrrev_b32_e32 v8, 21, v8
	v_and_b32_e32 v62, 0xffff, v62
	s_delay_alu instid0(VALU_DEP_3) | instskip(NEXT) | instid1(VALU_DEP_3)
	v_and_b32_e32 v14, 0xffff, v14
	v_mul_lo_u16 v8, v8, 60
	s_delay_alu instid0(VALU_DEP_2) | instskip(NEXT) | instid1(VALU_DEP_2)
	v_add_co_u32 v14, s2, s0, v14
	v_sub_nc_u16 v61, v10, v8
	s_clause 0x1
	global_load_b32 v206, v[12:13], off offset:216
	global_load_b128 v[8:11], v[12:13], off offset:200
	v_mul_lo_u16 v15, v61, 20
	v_and_b32_e32 v61, 0xffff, v61
	s_waitcnt vmcnt(1)
	v_lshrrev_b32_e32 v208, 16, v206
	s_waitcnt vmcnt(0)
	v_lshrrev_b32_e32 v216, 16, v8
	v_lshrrev_b32_e32 v215, 16, v9
	v_lshrrev_b32_e32 v214, 16, v10
	v_lshrrev_b32_e32 v213, 16, v11
	s_delay_alu instid0(VALU_DEP_4) | instskip(SKIP_2) | instid1(VALU_DEP_3)
	v_mul_f16_e64 v19, v18, v216
	v_mul_f16_e64 v82, v16, v216
	;; [unrolled: 1-line block ×3, first 2 shown]
	v_fma_f16 v81, v16, v8, -v19
	v_lshrrev_b32_e32 v19, 16, v17
	s_delay_alu instid0(VALU_DEP_4) | instskip(NEXT) | instid1(VALU_DEP_2)
	v_fmac_f16_e32 v82, v18, v8
	v_mul_f16_e64 v36, v19, v216
	v_fmac_f16_e32 v64, v19, v8
	s_delay_alu instid0(VALU_DEP_2)
	v_fma_f16 v63, v17, v8, -v36
	ds_load_2addr_b32 v[16:17], v92 offset0:80 offset1:140
	s_waitcnt lgkmcnt(0)
	v_lshrrev_b32_e32 v36, 16, v16
	v_lshrrev_b32_e32 v38, 16, v17
	v_mul_f16_e64 v67, v17, v215
	s_delay_alu instid0(VALU_DEP_3) | instskip(NEXT) | instid1(VALU_DEP_3)
	v_mul_f16_e64 v37, v36, v215
	v_mul_f16_e64 v39, v38, v215
	s_delay_alu instid0(VALU_DEP_3) | instskip(NEXT) | instid1(VALU_DEP_3)
	v_fmac_f16_e32 v67, v38, v9
	v_fma_f16 v37, v16, v9, -v37
	s_delay_alu instid0(VALU_DEP_3)
	v_fma_f16 v66, v17, v9, -v39
	v_mul_f16_e64 v39, v16, v215
	ds_load_2addr_b32 v[16:17], v93 offset0:56 offset1:116
	v_fmac_f16_e32 v39, v36, v9
	s_waitcnt lgkmcnt(0)
	v_lshrrev_b32_e32 v40, 16, v16
	v_lshrrev_b32_e32 v42, 16, v17
	v_mul_f16_e64 v44, v16, v214
	v_mul_f16_e64 v45, v17, v214
	s_delay_alu instid0(VALU_DEP_4) | instskip(NEXT) | instid1(VALU_DEP_4)
	v_mul_f16_e64 v41, v40, v214
	v_mul_f16_e64 v43, v42, v214
	s_delay_alu instid0(VALU_DEP_4) | instskip(NEXT) | instid1(VALU_DEP_4)
	v_fmac_f16_e32 v44, v40, v10
	v_fmac_f16_e32 v45, v42, v10
	s_delay_alu instid0(VALU_DEP_4) | instskip(NEXT) | instid1(VALU_DEP_4)
	v_fma_f16 v41, v16, v10, -v41
	v_fma_f16 v43, v17, v10, -v43
	ds_load_2addr_b32 v[16:17], v94 offset0:160 offset1:220
	v_add_f16_e32 v90, v64, v45
	v_add_f16_e32 v84, v63, v43
	s_waitcnt lgkmcnt(0)
	v_lshrrev_b32_e32 v46, 16, v16
	v_lshrrev_b32_e32 v48, 16, v17
	v_mul_f16_e64 v71, v17, v213
	s_delay_alu instid0(VALU_DEP_3) | instskip(NEXT) | instid1(VALU_DEP_3)
	v_mul_f16_e64 v47, v46, v213
	v_mul_f16_e64 v49, v48, v213
	s_delay_alu instid0(VALU_DEP_3) | instskip(NEXT) | instid1(VALU_DEP_3)
	v_fmac_f16_e32 v71, v48, v11
	v_fma_f16 v47, v16, v11, -v47
	s_delay_alu instid0(VALU_DEP_3)
	v_fma_f16 v70, v17, v11, -v49
	v_mul_f16_e64 v49, v16, v213
	ds_load_2addr_b32 v[16:17], v103 offset0:8 offset1:68
	v_add_f16_e32 v19, v37, v47
	v_add_f16_e32 v18, v66, v70
	v_fmac_f16_e32 v49, v46, v11
	v_sub_f16_e32 v114, v37, v47
	s_delay_alu instid0(VALU_DEP_2) | instskip(SKIP_4) | instid1(VALU_DEP_3)
	v_sub_f16_e32 v118, v39, v49
	s_waitcnt lgkmcnt(0)
	v_lshrrev_b32_e32 v52, 16, v17
	v_lshrrev_b32_e32 v50, 16, v16
	v_mul_f16_e64 v80, v17, v208
	v_mul_f16_e64 v53, v52, v208
	s_delay_alu instid0(VALU_DEP_3) | instskip(NEXT) | instid1(VALU_DEP_3)
	v_mul_f16_e64 v51, v50, v208
	v_fmac_f16_e64 v80, v52, v206
	s_delay_alu instid0(VALU_DEP_3) | instskip(NEXT) | instid1(VALU_DEP_3)
	v_fma_f16 v79, v17, v206, -v53
	v_fma_f16 v51, v16, v206, -v51
	v_mul_f16_e64 v53, v16, v208
	s_delay_alu instid0(VALU_DEP_3) | instskip(NEXT) | instid1(VALU_DEP_3)
	v_add_f16_e32 v16, v43, v79
	v_sub_f16_e32 v122, v41, v51
	s_delay_alu instid0(VALU_DEP_3) | instskip(NEXT) | instid1(VALU_DEP_3)
	v_fmac_f16_e64 v53, v50, v206
	v_fmac_f16_e32 v63, -0.5, v16
	v_add_f16_e32 v16, v45, v80
	s_delay_alu instid0(VALU_DEP_3) | instskip(NEXT) | instid1(VALU_DEP_2)
	v_sub_f16_e32 v124, v44, v53
	v_fmac_f16_e32 v64, -0.5, v16
	ds_load_2addr_b32 v[16:17], v115 offset1:60
	s_waitcnt lgkmcnt(0)
	v_lshrrev_b32_e32 v106, 16, v17
	v_add_f16_e32 v107, v17, v66
	v_fmac_f16_e32 v17, -0.5, v18
	v_sub_f16_e32 v18, v45, v80
	v_fma_f16 v111, -0.5, v19, v16
	v_lshrrev_b32_e32 v113, 16, v16
	v_add_f16_e32 v16, v16, v37
	v_add_f16_e32 v19, v81, v41
	v_fmamk_f16 v108, v18, 0x3aee, v63
	v_fmac_f16_e32 v63, 0xbaee, v18
	v_sub_f16_e32 v18, v43, v79
	v_add_f16_e32 v116, v16, v47
	v_add_f16_e32 v16, v39, v49
	;; [unrolled: 1-line block ×3, first 2 shown]
	v_fma_f16 v138, 0x3aee, v118, v111
	v_fmamk_f16 v109, v18, 0xbaee, v64
	v_fmac_f16_e32 v64, 0x3aee, v18
	v_sub_f16_e32 v18, v67, v71
	v_mad_u64_u32 v[36:37], null, v142, 20, s[0:1]
	v_fmac_f16_e32 v111, 0xbaee, v118
	v_sub_f16_e32 v66, v66, v70
	s_delay_alu instid0(VALU_DEP_4) | instskip(SKIP_2) | instid1(VALU_DEP_1)
	v_fmamk_f16 v110, v18, 0x3aee, v17
	v_fmac_f16_e32 v17, 0xbaee, v18
	v_mul_f16_e32 v18, -0.5, v63
	v_fmac_f16_e32 v18, 0x3aee, v64
	v_mul_f16_e32 v64, -0.5, v64
	s_delay_alu instid0(VALU_DEP_2)
	v_add_f16_e32 v112, v17, v18
	v_sub_f16_e32 v65, v17, v18
	v_add_f16_e32 v17, v113, v39
	v_fmac_f16_e32 v113, -0.5, v16
	v_add_f16_e32 v16, v44, v53
	v_add_f16_e32 v18, v82, v44
	v_fmac_f16_e32 v64, 0xbaee, v63
	v_add_f16_e32 v120, v17, v49
	v_fma_f16 v139, 0xbaee, v114, v113
	v_fmac_f16_e32 v82, -0.5, v16
	v_add_f16_e32 v16, v41, v51
	v_add_f16_e32 v127, v18, v53
	v_mad_u64_u32 v[18:19], null, v83, 20, s[0:1]
	v_fmac_f16_e32 v113, 0x3aee, v114
	s_delay_alu instid0(VALU_DEP_4) | instskip(SKIP_2) | instid1(VALU_DEP_3)
	v_fmac_f16_e32 v81, -0.5, v16
	v_fmamk_f16 v16, v122, 0xbaee, v82
	v_fmac_f16_e32 v82, 0x3aee, v122
	v_fmamk_f16 v17, v124, 0x3aee, v81
	s_delay_alu instid0(VALU_DEP_3) | instskip(SKIP_1) | instid1(VALU_DEP_3)
	v_mul_f16_e64 v128, 0x3aee, v16
	v_fmac_f16_e32 v81, 0xbaee, v124
	v_mul_f16_e64 v132, 0xbaee, v17
	s_delay_alu instid0(VALU_DEP_3) | instskip(SKIP_1) | instid1(VALU_DEP_4)
	v_fmac_f16_e64 v128, 0.5, v17
	v_add_f16_e32 v17, v120, v127
	v_mul_f16_e32 v114, -0.5, v81
	s_delay_alu instid0(VALU_DEP_4) | instskip(SKIP_1) | instid1(VALU_DEP_3)
	v_fmac_f16_e64 v132, 0.5, v16
	v_add_f16_e32 v16, v116, v123
	v_fmac_f16_e32 v114, 0x3aee, v82
	v_mul_f16_e32 v82, -0.5, v82
	s_delay_alu instid0(VALU_DEP_3) | instskip(SKIP_2) | instid1(VALU_DEP_4)
	v_pack_b32_f16 v133, v16, v17
	v_add_f16_e64 v16, v138, v128
	v_add_f16_e64 v17, v139, v132
	v_fmac_f16_e32 v82, 0xbaee, v81
	v_sub_f16_e32 v81, v116, v123
	v_sub_f16_e32 v116, v120, v127
	v_add_f16_e32 v118, v111, v114
	v_pack_b32_f16 v140, v16, v17
	v_and_b32_e32 v16, 0xffff, v15
	v_add_co_ci_u32_e64 v15, null, s1, 0, s2
	v_add_f16_e32 v120, v113, v82
	v_pack_b32_f16 v81, v81, v116
	s_delay_alu instid0(VALU_DEP_4) | instskip(NEXT) | instid1(VALU_DEP_1)
	v_add_co_u32 v16, s2, s0, v16
	v_add_co_ci_u32_e64 v17, null, s1, 0, s2
	s_clause 0x7
	global_load_b32 v196, v[18:19], off offset:216
	global_load_b32 v192, v[14:15], off offset:216
	;; [unrolled: 1-line block ×4, first 2 shown]
	global_load_b128 v[48:51], v[36:37], off offset:200
	global_load_b128 v[44:47], v[18:19], off offset:200
	;; [unrolled: 1-line block ×4, first 2 shown]
	v_pack_b32_f16 v118, v118, v120
	ds_load_2addr_b32 v[58:59], v115 offset0:120 offset1:180
	ds_load_2addr_b32 v[87:88], v89 offset0:96 offset1:156
	;; [unrolled: 1-line block ×12, first 2 shown]
	s_waitcnt vmcnt(0) lgkmcnt(0)
	s_barrier
	buffer_gl0_inv
	ds_store_2addr_b32 v115, v133, v140 offset1:60
	ds_store_2addr_b32 v115, v118, v81 offset0:120 offset1:180
	v_sub_f16_e64 v81, v138, v128
	v_sub_f16_e32 v111, v111, v114
	v_sub_f16_e64 v114, v139, v132
	v_sub_f16_e32 v82, v113, v82
	s_add_u32 s2, s8, 0x21c0
	s_addc_u32 s3, s9, 0
	s_delay_alu instid0(VALU_DEP_2) | instskip(NEXT) | instid1(VALU_DEP_2)
	v_pack_b32_f16 v81, v81, v114
	v_pack_b32_f16 v82, v111, v82
	ds_store_2addr_b32 v86, v81, v82 offset0:112 offset1:172
	v_add_f16_e32 v81, v106, v67
	v_add_f16_e32 v67, v67, v71
	s_delay_alu instid0(VALU_DEP_2) | instskip(NEXT) | instid1(VALU_DEP_2)
	v_add_f16_e32 v71, v81, v71
	v_fmac_f16_e32 v106, -0.5, v67
	v_add_f16_e32 v67, v107, v70
	v_add_f16_e32 v70, v84, v79
	;; [unrolled: 1-line block ×3, first 2 shown]
	v_mul_f16_e32 v80, 0x3aee, v109
	v_mul_f16_e32 v81, 0xbaee, v108
	s_delay_alu instid0(VALU_DEP_4) | instskip(NEXT) | instid1(VALU_DEP_4)
	v_add_f16_e32 v82, v67, v70
	v_add_f16_e32 v84, v71, v79
	v_sub_f16_e32 v63, v67, v70
	v_fmac_f16_e32 v80, 0.5, v108
	v_fmac_f16_e32 v81, 0.5, v109
	s_delay_alu instid0(VALU_DEP_4) | instskip(SKIP_4) | instid1(VALU_DEP_4)
	v_pack_b32_f16 v82, v82, v84
	v_fmamk_f16 v84, v66, 0xbaee, v106
	v_fmac_f16_e32 v106, 0x3aee, v66
	v_sub_f16_e32 v66, v71, v79
	v_add_f16_e32 v90, v110, v80
	v_add_f16_e32 v107, v84, v81
	s_delay_alu instid0(VALU_DEP_4) | instskip(NEXT) | instid1(VALU_DEP_4)
	v_add_f16_e32 v67, v106, v64
	v_pack_b32_f16 v63, v63, v66
	v_sub_f16_e32 v66, v84, v81
	v_sub_f16_e32 v64, v106, v64
	v_pack_b32_f16 v90, v90, v107
	v_pack_b32_f16 v67, v112, v67
	v_lshlrev_b32_e32 v106, 2, v142
	s_delay_alu instid0(VALU_DEP_4)
	v_pack_b32_f16 v64, v65, v64
	v_lshrrev_b32_e32 v65, 16, v101
	ds_store_2addr_b32 v89, v67, v63 offset0:96 offset1:156
	v_sub_f16_e32 v63, v110, v80
	v_lshrrev_b32_e32 v67, 16, v58
	ds_store_2addr_b32 v91, v82, v90 offset0:104 offset1:164
	v_lshrrev_b32_e32 v80, 16, v104
	v_pack_b32_f16 v63, v63, v66
	ds_store_2addr_b32 v98, v63, v64 offset0:88 offset1:148
	v_lshrrev_b32_e32 v63, 16, v95
	v_lshrrev_b32_e32 v82, 16, v202
	;; [unrolled: 1-line block ×6, first 2 shown]
	v_mul_f16_e32 v81, v104, v82
	v_mul_f16_e64 v64, v95, v149
	v_mul_f16_e64 v66, v101, v141
	v_lshrrev_b32_e32 v168, 16, v44
	v_mul_f16_e64 v84, v87, v161
	v_fmac_f16_e64 v81, v80, v202
	v_fmac_f16_e32 v64, v63, v49
	v_fmac_f16_e32 v66, v65, v51
	v_mul_f16_e64 v63, v63, v149
	v_mul_f16_e64 v65, v65, v141
	v_mul_f16_e32 v80, v80, v82
	v_add_f16_e32 v71, v67, v64
	v_add_f16_e32 v70, v64, v66
	v_fma_f16 v63, v95, v49, -v63
	v_fma_f16 v65, v101, v51, -v65
	v_sub_f16_e32 v64, v64, v66
	v_lshrrev_b32_e32 v82, 16, v87
	v_fmac_f16_e32 v67, -0.5, v70
	v_add_f16_e32 v70, v58, v63
	v_add_f16_e32 v79, v63, v65
	v_sub_f16_e32 v63, v63, v65
	v_fmac_f16_e32 v84, v82, v48
	v_mul_f16_e64 v82, v82, v161
	v_add_f16_e32 v70, v70, v65
	v_add_f16_e32 v65, v71, v66
	v_lshrrev_b32_e32 v66, 16, v99
	v_mul_f16_e64 v71, v99, v152
	v_fma_f16 v80, v104, v202, -v80
	v_fma_f16 v82, v87, v48, -v82
	v_fma_f16 v58, -0.5, v79, v58
	v_lshrrev_b32_e32 v166, 16, v45
	v_fmac_f16_e32 v71, v66, v50
	v_mul_f16_e64 v66, v66, v152
	v_lshrrev_b32_e32 v158, 16, v47
	v_fmamk_f16 v79, v64, 0x3aee, v58
	v_fmac_f16_e32 v58, 0xbaee, v64
	v_add_f16_e32 v95, v84, v71
	v_fma_f16 v66, v99, v50, -v66
	v_lshrrev_b32_e32 v165, 16, v46
	v_lshrrev_b32_e32 v159, 16, v41
	;; [unrolled: 1-line block ×4, first 2 shown]
	v_add_f16_e32 v87, v66, v80
	v_add_f16_e32 v90, v82, v66
	v_sub_f16_e32 v66, v66, v80
	v_lshrrev_b32_e32 v128, 16, v36
	v_lshrrev_b32_e32 v127, 16, v37
	v_fmac_f16_e32 v82, -0.5, v87
	v_add_f16_e32 v87, v71, v81
	v_sub_f16_e32 v71, v71, v81
	v_add_f16_e32 v80, v90, v80
	v_add_f16_e32 v81, v95, v81
	v_lshrrev_b32_e32 v123, 16, v39
	v_fmac_f16_e32 v84, -0.5, v87
	v_fmamk_f16 v90, v71, 0x3aee, v82
	v_fmac_f16_e32 v82, 0xbaee, v71
	v_add_f16_e32 v99, v65, v81
	v_sub_f16_e32 v65, v65, v81
	v_fmamk_f16 v87, v66, 0xbaee, v84
	v_fmac_f16_e32 v84, 0x3aee, v66
	v_sub_f16_e32 v66, v70, v80
	v_lshrrev_b32_e32 v124, 16, v38
	s_delay_alu instid0(VALU_DEP_4) | instskip(NEXT) | instid1(VALU_DEP_4)
	v_mul_f16_e32 v95, 0x3aee, v87
	v_mul_f16_e32 v64, -0.5, v84
	s_delay_alu instid0(VALU_DEP_4) | instskip(SKIP_1) | instid1(VALU_DEP_4)
	v_pack_b32_f16 v65, v66, v65
	v_add_nc_u32_e32 v66, 0xc00, v106
	v_fmac_f16_e32 v95, 0.5, v90
	v_mul_f16_e32 v90, 0xbaee, v90
	v_fmac_f16_e32 v64, 0xbaee, v82
	s_delay_alu instid0(VALU_DEP_3) | instskip(NEXT) | instid1(VALU_DEP_3)
	v_add_f16_e32 v101, v79, v95
	v_fmac_f16_e32 v90, 0.5, v87
	v_add_f16_e32 v87, v70, v80
	v_lshrrev_b32_e32 v80, 16, v102
	s_delay_alu instid0(VALU_DEP_2)
	v_pack_b32_f16 v87, v87, v99
	v_fmamk_f16 v99, v63, 0xbaee, v67
	v_fmac_f16_e32 v67, 0x3aee, v63
	v_mul_f16_e32 v63, -0.5, v82
	v_mul_f16_e64 v81, v80, v158
	v_mul_f16_e64 v82, v102, v158
	v_add_f16_e32 v104, v99, v90
	v_add_f16_e32 v71, v67, v64
	v_fmac_f16_e32 v63, 0x3aee, v84
	v_sub_f16_e32 v64, v67, v64
	v_lshrrev_b32_e32 v84, 16, v105
	v_pack_b32_f16 v101, v101, v104
	v_add_nc_u32_e32 v104, 0xa00, v106
	v_add_f16_e32 v70, v58, v63
	v_sub_f16_e32 v58, v58, v63
	v_sub_f16_e32 v63, v99, v90
	v_fma_f16 v81, v102, v47, -v81
	ds_store_2addr_b32 v104, v87, v101 offset0:80 offset1:140
	v_pack_b32_f16 v70, v70, v71
	v_pack_b32_f16 v58, v58, v64
	v_mul_f16_e64 v64, v88, v168
	v_mul_f16_e64 v67, v96, v166
	v_fmac_f16_e32 v82, v80, v47
	ds_store_2addr_b32 v66, v70, v65 offset0:72 offset1:132
	v_sub_f16_e32 v65, v79, v95
	v_lshrrev_b32_e32 v70, 16, v100
	v_mul_f16_e64 v79, v100, v165
	s_delay_alu instid0(VALU_DEP_3) | instskip(SKIP_1) | instid1(VALU_DEP_4)
	v_pack_b32_f16 v63, v65, v63
	v_lshrrev_b32_e32 v65, 16, v96
	v_mul_f16_e64 v71, v70, v165
	s_delay_alu instid0(VALU_DEP_4)
	v_fmac_f16_e32 v79, v70, v46
	ds_store_2addr_b32 v66, v63, v58 offset0:192 offset1:252
	v_lshrrev_b32_e32 v58, 16, v88
	v_mul_f16_e64 v66, v65, v166
	v_fma_f16 v71, v100, v46, -v71
	v_fmac_f16_e32 v67, v65, v45
	v_lshrrev_b32_e32 v65, 16, v59
	v_mul_f16_e64 v63, v58, v168
	v_fma_f16 v66, v96, v45, -v66
	v_fmac_f16_e32 v64, v58, v44
	s_delay_alu instid0(VALU_DEP_4) | instskip(NEXT) | instid1(VALU_DEP_4)
	v_add_f16_e32 v90, v65, v67
	v_fma_f16 v63, v88, v44, -v63
	v_lshrrev_b32_e32 v88, 16, v196
	v_add_f16_e32 v58, v66, v81
	v_add_f16_e32 v70, v59, v66
	s_delay_alu instid0(VALU_DEP_4) | instskip(NEXT) | instid1(VALU_DEP_4)
	v_add_f16_e32 v80, v63, v71
	v_mul_f16_e32 v87, v84, v88
	v_mul_f16_e32 v88, v105, v88
	v_fmac_f16_e32 v59, -0.5, v58
	s_delay_alu instid0(VALU_DEP_3) | instskip(NEXT) | instid1(VALU_DEP_3)
	v_fma_f16 v87, v105, v196, -v87
	v_fmac_f16_e64 v88, v84, v196
	v_add_f16_e32 v84, v64, v79
	s_delay_alu instid0(VALU_DEP_3) | instskip(SKIP_2) | instid1(VALU_DEP_3)
	v_add_f16_e32 v58, v71, v87
	v_sub_f16_e32 v71, v71, v87
	v_add_f16_e32 v80, v80, v87
	v_fmac_f16_e32 v63, -0.5, v58
	v_add_f16_e32 v58, v79, v88
	v_sub_f16_e32 v79, v79, v88
	s_delay_alu instid0(VALU_DEP_2) | instskip(SKIP_2) | instid1(VALU_DEP_2)
	v_fmac_f16_e32 v64, -0.5, v58
	v_add_f16_e32 v58, v67, v82
	v_sub_f16_e32 v67, v67, v82
	v_fmac_f16_e32 v65, -0.5, v58
	v_sub_f16_e32 v58, v66, v81
	v_add_f16_e32 v66, v70, v81
	v_add_f16_e32 v70, v90, v82
	v_fmamk_f16 v82, v71, 0xbaee, v64
	v_add_f16_e32 v81, v84, v88
	v_fmamk_f16 v84, v79, 0x3aee, v63
	v_fmac_f16_e32 v63, 0xbaee, v79
	v_fmamk_f16 v90, v58, 0xbaee, v65
	v_mul_f16_e32 v87, 0x3aee, v82
	v_add_f16_e32 v88, v70, v81
	v_fmac_f16_e32 v64, 0x3aee, v71
	v_fmac_f16_e32 v65, 0x3aee, v58
	v_mul_f16_e32 v58, -0.5, v63
	v_fmac_f16_e32 v87, 0.5, v84
	v_mul_f16_e32 v84, 0xbaee, v84
	v_lshrrev_b32_e32 v79, 16, v192
	s_delay_alu instid0(VALU_DEP_4) | instskip(SKIP_1) | instid1(VALU_DEP_4)
	v_fmac_f16_e32 v58, 0x3aee, v64
	v_mul_f16_e32 v64, -0.5, v64
	v_fmac_f16_e32 v84, 0.5, v82
	v_add_f16_e32 v82, v66, v80
	v_mul_f16_e32 v71, v16, v79
	s_delay_alu instid0(VALU_DEP_4) | instskip(NEXT) | instid1(VALU_DEP_4)
	v_fmac_f16_e32 v64, 0xbaee, v63
	v_add_f16_e32 v96, v90, v84
	s_delay_alu instid0(VALU_DEP_4)
	v_pack_b32_f16 v82, v82, v88
	v_fmamk_f16 v88, v67, 0x3aee, v59
	v_fmac_f16_e32 v59, 0xbaee, v67
	v_sub_f16_e32 v63, v66, v80
	v_sub_f16_e32 v66, v70, v81
	v_add_f16_e32 v70, v65, v64
	v_add_f16_e32 v95, v88, v87
	v_add_f16_e32 v67, v59, v58
	v_sub_f16_e32 v58, v59, v58
	v_pack_b32_f16 v63, v63, v66
	v_sub_f16_e32 v59, v88, v87
	v_pack_b32_f16 v95, v95, v96
	v_lshlrev_b32_e32 v96, 2, v83
	v_pack_b32_f16 v67, v67, v70
	v_sub_f16_e32 v64, v65, v64
	v_lshrrev_b32_e32 v65, 16, v14
	v_lshrrev_b32_e32 v70, 16, v42
	v_add_nc_u32_e32 v83, 0x1000, v96
	v_mul_f16_e32 v80, v56, v122
	v_pack_b32_f16 v58, v58, v64
	v_mul_f16_e64 v64, v18, v177
	scratch_store_b32 off, v106, off offset:184 ; 4-byte Folded Spill
	ds_store_2addr_b32 v83, v67, v63 offset0:176 offset1:236
	v_sub_f16_e32 v63, v90, v84
	ds_store_2addr_b32 v83, v82, v95 offset0:56 offset1:116
	v_pack_b32_f16 v59, v59, v63
	v_add_nc_u32_e32 v63, 0x1400, v96
	ds_store_2addr_b32 v63, v59, v58 offset0:40 offset1:100
	v_lshrrev_b32_e32 v58, 16, v54
	v_mul_f16_e64 v59, v54, v159
	v_lshrrev_b32_e32 v63, 16, v18
	s_delay_alu instid0(VALU_DEP_2) | instskip(SKIP_1) | instid1(VALU_DEP_3)
	v_fmac_f16_e32 v59, v58, v41
	v_mul_f16_e64 v58, v58, v159
	v_fmac_f16_e32 v64, v63, v43
	v_mul_f16_e64 v63, v63, v177
	s_delay_alu instid0(VALU_DEP_4) | instskip(NEXT) | instid1(VALU_DEP_4)
	v_add_f16_e32 v67, v65, v59
	v_fma_f16 v54, v54, v41, -v58
	s_delay_alu instid0(VALU_DEP_4) | instskip(NEXT) | instid1(VALU_DEP_4)
	v_add_f16_e32 v66, v59, v64
	v_fma_f16 v18, v18, v43, -v63
	s_delay_alu instid0(VALU_DEP_3) | instskip(NEXT) | instid1(VALU_DEP_3)
	v_add_f16_e32 v58, v14, v54
	v_fmac_f16_e32 v65, -0.5, v66
	s_delay_alu instid0(VALU_DEP_3) | instskip(SKIP_1) | instid1(VALU_DEP_4)
	v_add_f16_e32 v63, v54, v18
	v_mul_f16_e32 v66, v52, v70
	v_add_f16_e32 v58, v58, v18
	v_sub_f16_e32 v18, v54, v18
	v_sub_f16_e32 v54, v59, v64
	v_add_f16_e32 v59, v67, v64
	v_lshrrev_b32_e32 v64, 16, v52
	v_lshrrev_b32_e32 v67, 16, v16
	v_fma_f16 v14, -0.5, v63, v14
	s_delay_alu instid0(VALU_DEP_3) | instskip(SKIP_1) | instid1(VALU_DEP_4)
	v_fmac_f16_e32 v66, v64, v42
	v_mul_f16_e32 v64, v64, v70
	v_fmac_f16_e64 v71, v67, v192
	v_mul_f16_e32 v67, v67, v79
	v_lshrrev_b32_e32 v79, 16, v56
	v_fmamk_f16 v63, v54, 0x3aee, v14
	v_fma_f16 v52, v52, v42, -v64
	v_fmac_f16_e32 v14, 0xbaee, v54
	v_fma_f16 v16, v16, v192, -v67
	v_fmac_f16_e32 v80, v79, v40
	v_mul_f16_e32 v79, v79, v122
	s_delay_alu instid0(VALU_DEP_3) | instskip(NEXT) | instid1(VALU_DEP_2)
	v_add_f16_e32 v64, v52, v16
	v_fma_f16 v56, v56, v40, -v79
	s_delay_alu instid0(VALU_DEP_4) | instskip(NEXT) | instid1(VALU_DEP_2)
	v_add_f16_e32 v79, v80, v66
	v_add_f16_e32 v67, v56, v52
	s_delay_alu instid0(VALU_DEP_4) | instskip(SKIP_2) | instid1(VALU_DEP_4)
	v_fmac_f16_e32 v56, -0.5, v64
	v_add_f16_e32 v64, v66, v71
	v_sub_f16_e32 v52, v52, v16
	v_add_f16_e32 v16, v67, v16
	s_delay_alu instid0(VALU_DEP_3) | instskip(SKIP_2) | instid1(VALU_DEP_3)
	v_fmac_f16_e32 v80, -0.5, v64
	v_sub_f16_e32 v64, v66, v71
	v_add_f16_e32 v66, v79, v71
	v_fmamk_f16 v67, v52, 0xbaee, v80
	s_delay_alu instid0(VALU_DEP_3) | instskip(NEXT) | instid1(VALU_DEP_3)
	v_fmamk_f16 v71, v64, 0x3aee, v56
	v_add_f16_e32 v81, v59, v66
	v_fmac_f16_e32 v56, 0xbaee, v64
	v_fmac_f16_e32 v80, 0x3aee, v52
	v_mul_f16_e32 v79, 0x3aee, v67
	v_sub_f16_e32 v54, v59, v66
	v_lshrrev_b32_e32 v64, 16, v189
	s_delay_alu instid0(VALU_DEP_4) | instskip(NEXT) | instid1(VALU_DEP_4)
	v_mul_f16_e32 v52, -0.5, v80
	v_fmac_f16_e32 v79, 0.5, v71
	v_mul_f16_e32 v71, 0xbaee, v71
	s_delay_alu instid0(VALU_DEP_3) | instskip(NEXT) | instid1(VALU_DEP_3)
	v_fmac_f16_e32 v52, 0xbaee, v56
	v_add_f16_e32 v82, v63, v79
	s_delay_alu instid0(VALU_DEP_3) | instskip(SKIP_2) | instid1(VALU_DEP_2)
	v_fmac_f16_e32 v71, 0.5, v67
	v_add_f16_e32 v67, v58, v16
	v_sub_f16_e32 v16, v58, v16
	v_pack_b32_f16 v67, v67, v81
	v_fmamk_f16 v81, v18, 0xbaee, v65
	v_fmac_f16_e32 v65, 0x3aee, v18
	v_mul_f16_e32 v18, -0.5, v56
	v_pack_b32_f16 v16, v16, v54
	s_delay_alu instid0(VALU_DEP_4) | instskip(NEXT) | instid1(VALU_DEP_4)
	v_add_f16_e32 v83, v81, v71
	v_add_f16_e32 v58, v65, v52
	s_delay_alu instid0(VALU_DEP_4) | instskip(SKIP_1) | instid1(VALU_DEP_4)
	v_fmac_f16_e32 v18, 0x3aee, v80
	v_sub_f16_e32 v52, v65, v52
	v_pack_b32_f16 v82, v82, v83
	v_lshlrev_b32_e32 v83, 2, v62
	scratch_store_b32 off, v96, off offset:188 ; 4-byte Folded Spill
	v_add_f16_e32 v56, v14, v18
	v_sub_f16_e32 v14, v14, v18
	v_sub_f16_e32 v18, v81, v71
	v_add_nc_u32_e32 v54, 0x1800, v83
	v_add_nc_u32_e32 v62, 0x1400, v83
	v_pack_b32_f16 v56, v56, v58
	v_pack_b32_f16 v14, v14, v52
	v_lshrrev_b32_e32 v52, 16, v55
	v_lshrrev_b32_e32 v58, 16, v19
	ds_store_2addr_b32 v62, v67, v82 offset0:160 offset1:220
	ds_store_2addr_b32 v54, v56, v16 offset0:24 offset1:84
	v_sub_f16_e32 v16, v63, v79
	v_lshrrev_b32_e32 v56, 16, v53
	v_mul_f16_e32 v59, v58, v123
	v_lshrrev_b32_e32 v62, 16, v17
	s_delay_alu instid0(VALU_DEP_4) | instskip(SKIP_1) | instid1(VALU_DEP_4)
	v_pack_b32_f16 v16, v16, v18
	v_mul_f16_e64 v18, v57, v128
	v_fma_f16 v59, v19, v39, -v59
	s_delay_alu instid0(VALU_DEP_4)
	v_mul_f16_e32 v63, v62, v64
	v_mul_f16_e32 v19, v19, v123
	ds_store_2addr_b32 v54, v16, v14 offset0:144 offset1:204
	v_lshrrev_b32_e32 v14, 16, v57
	v_mul_f16_e32 v54, v52, v127
	v_fma_f16 v63, v17, v189, -v63
	v_mul_f16_e32 v17, v17, v64
	v_fmac_f16_e32 v19, v58, v39
	v_mul_f16_e64 v16, v14, v128
	v_fma_f16 v54, v55, v37, -v54
	v_mul_f16_e32 v55, v55, v127
	v_fmac_f16_e32 v18, v14, v36
	v_fmac_f16_e64 v17, v62, v189
	v_fma_f16 v16, v57, v36, -v16
	v_mul_f16_e32 v57, v56, v124
	v_add_f16_e32 v14, v54, v59
	v_fmac_f16_e32 v55, v52, v37
	v_lshrrev_b32_e32 v52, 16, v15
	s_delay_alu instid0(VALU_DEP_4) | instskip(SKIP_1) | instid1(VALU_DEP_3)
	v_fma_f16 v57, v53, v38, -v57
	v_mul_f16_e32 v53, v53, v124
	v_add_f16_e32 v64, v52, v55
	s_delay_alu instid0(VALU_DEP_3) | instskip(NEXT) | instid1(VALU_DEP_3)
	v_add_f16_e32 v58, v16, v57
	v_fmac_f16_e32 v53, v56, v38
	v_add_f16_e32 v56, v15, v54
	v_fmac_f16_e32 v15, -0.5, v14
	v_add_f16_e32 v14, v57, v63
	s_delay_alu instid0(VALU_DEP_4) | instskip(NEXT) | instid1(VALU_DEP_2)
	v_add_f16_e32 v62, v18, v53
	v_fmac_f16_e32 v16, -0.5, v14
	v_add_f16_e32 v14, v53, v17
	v_sub_f16_e32 v53, v53, v17
	s_delay_alu instid0(VALU_DEP_4) | instskip(NEXT) | instid1(VALU_DEP_3)
	v_add_f16_e32 v17, v62, v17
	v_fmac_f16_e32 v18, -0.5, v14
	v_add_f16_e32 v14, v55, v19
	v_sub_f16_e32 v55, v55, v19
	v_add_f16_e32 v19, v64, v19
	s_delay_alu instid0(VALU_DEP_3)
	v_fmac_f16_e32 v52, -0.5, v14
	v_sub_f16_e32 v14, v54, v59
	v_add_f16_e32 v54, v56, v59
	v_sub_f16_e32 v56, v57, v63
	v_add_f16_e32 v57, v58, v63
	v_fmamk_f16 v59, v53, 0x3aee, v16
	v_fmac_f16_e32 v16, 0xbaee, v53
	v_add_f16_e32 v63, v19, v17
	v_fmamk_f16 v58, v56, 0xbaee, v18
	v_fmamk_f16 v64, v14, 0xbaee, v52
	v_fmac_f16_e32 v18, 0x3aee, v56
	v_fmac_f16_e32 v52, 0x3aee, v14
	v_mul_f16_e32 v14, -0.5, v16
	v_mul_f16_e32 v62, 0x3aee, v58
	v_sub_f16_e32 v17, v19, v17
	s_delay_alu instid0(VALU_DEP_3) | instskip(NEXT) | instid1(VALU_DEP_3)
	v_fmac_f16_e32 v14, 0x3aee, v18
	v_fmac_f16_e32 v62, 0.5, v59
	v_mul_f16_e32 v59, 0xbaee, v59
	v_mul_f16_e32 v18, -0.5, v18
	s_delay_alu instid0(VALU_DEP_2) | instskip(SKIP_1) | instid1(VALU_DEP_3)
	v_fmac_f16_e32 v59, 0.5, v58
	v_add_f16_e32 v58, v54, v57
	v_fmac_f16_e32 v18, 0xbaee, v16
	v_sub_f16_e32 v16, v54, v57
	s_delay_alu instid0(VALU_DEP_4) | instskip(NEXT) | instid1(VALU_DEP_4)
	v_add_f16_e32 v66, v64, v59
	v_pack_b32_f16 v58, v58, v63
	v_fmamk_f16 v63, v55, 0x3aee, v15
	v_fmac_f16_e32 v15, 0xbaee, v55
	v_add_f16_e32 v53, v52, v18
	v_pack_b32_f16 v16, v16, v17
	v_sub_f16_e32 v17, v52, v18
	v_add_f16_e32 v65, v63, v62
	v_add_f16_e32 v19, v15, v14
	v_sub_f16_e32 v14, v15, v14
	v_sub_f16_e32 v15, v63, v62
	s_delay_alu instid0(VALU_DEP_4)
	v_pack_b32_f16 v65, v65, v66
	v_lshlrev_b32_e32 v66, 2, v61
	scratch_store_b32 off, v83, off offset:192 ; 4-byte Folded Spill
	v_pack_b32_f16 v19, v19, v53
	v_pack_b32_f16 v14, v14, v17
	scratch_store_b32 off, v66, off offset:196 ; 4-byte Folded Spill
	v_add_nc_u32_e32 v61, 0x1c00, v66
	ds_store_2addr_b32 v61, v19, v16 offset0:128 offset1:188
	v_sub_f16_e32 v16, v64, v59
	ds_store_2addr_b32 v61, v58, v65 offset0:8 offset1:68
	v_pack_b32_f16 v15, v15, v16
	v_add_nc_u32_e32 v16, 0x1e00, v66
	ds_store_2addr_b32 v16, v15, v14 offset0:120 offset1:180
	s_waitcnt lgkmcnt(0)
	s_waitcnt_vscnt null, 0x0
	s_barrier
	buffer_gl0_inv
	s_clause 0x1
	global_load_b32 v209, v[12:13], off offset:1416
	global_load_b128 v[12:15], v[12:13], off offset:1400
	ds_load_2addr_b32 v[53:54], v91 offset0:104 offset1:164
	s_waitcnt lgkmcnt(0)
	v_lshrrev_b32_e32 v16, 16, v53
	v_lshrrev_b32_e32 v58, 16, v54
	s_waitcnt vmcnt(1)
	v_lshrrev_b32_e32 v95, 16, v209
	s_waitcnt vmcnt(0)
	v_lshrrev_b32_e32 v17, 16, v12
	v_lshrrev_b32_e32 v248, 16, v13
	;; [unrolled: 1-line block ×4, first 2 shown]
	s_delay_alu instid0(VALU_DEP_4) | instskip(NEXT) | instid1(VALU_DEP_1)
	v_mul_f16_e32 v56, v53, v17
	v_fmac_f16_e32 v56, v16, v12
	v_mul_f16_e32 v16, v16, v17
	s_delay_alu instid0(VALU_DEP_1)
	v_fma_f16 v57, v53, v12, -v16
	v_mad_u64_u32 v[52:53], null, v60, 20, s[0:1]
	s_clause 0x1
	global_load_b32 v211, v[52:53], off offset:1416
	global_load_b128 v[16:19], v[52:53], off offset:1400
	s_waitcnt vmcnt(1)
	v_lshrrev_b32_e32 v96, 16, v211
	s_waitcnt vmcnt(0)
	v_lshrrev_b32_e32 v238, 16, v16
	v_lshrrev_b32_e32 v239, 16, v17
	;; [unrolled: 1-line block ×4, first 2 shown]
	s_delay_alu instid0(VALU_DEP_4) | instskip(SKIP_1) | instid1(VALU_DEP_2)
	v_mul_f16_e64 v55, v58, v238
	v_mul_f16_e64 v61, v54, v238
	v_fma_f16 v60, v54, v16, -v55
	ds_load_2addr_b32 v[54:55], v92 offset0:80 offset1:140
	v_fmac_f16_e32 v61, v58, v16
	s_waitcnt lgkmcnt(0)
	v_lshrrev_b32_e32 v59, 16, v54
	v_mul_f16_e64 v79, v54, v248
	v_lshrrev_b32_e32 v66, 16, v55
	v_mul_f16_e64 v63, v55, v239
	s_delay_alu instid0(VALU_DEP_3) | instskip(SKIP_1) | instid1(VALU_DEP_3)
	v_fmac_f16_e32 v79, v59, v13
	v_mul_f16_e64 v59, v59, v248
	v_fmac_f16_e32 v63, v66, v17
	s_delay_alu instid0(VALU_DEP_2) | instskip(SKIP_1) | instid1(VALU_DEP_1)
	v_fma_f16 v59, v54, v13, -v59
	v_mul_f16_e64 v54, v66, v239
	v_fma_f16 v62, v55, v17, -v54
	ds_load_2addr_b32 v[54:55], v93 offset0:56 offset1:116
	s_waitcnt lgkmcnt(0)
	v_lshrrev_b32_e32 v64, 16, v54
	v_mul_f16_e64 v80, v54, v249
	v_lshrrev_b32_e32 v67, 16, v55
	v_mul_f16_e64 v82, v55, v241
	s_delay_alu instid0(VALU_DEP_3) | instskip(SKIP_1) | instid1(VALU_DEP_3)
	v_fmac_f16_e32 v80, v64, v14
	v_mul_f16_e64 v64, v64, v249
	v_fmac_f16_e32 v82, v67, v18
	s_delay_alu instid0(VALU_DEP_3) | instskip(NEXT) | instid1(VALU_DEP_3)
	v_add_f16_e32 v102, v56, v80
	v_fma_f16 v81, v54, v14, -v64
	v_mul_f16_e64 v54, v67, v241
	s_delay_alu instid0(VALU_DEP_4) | instskip(NEXT) | instid1(VALU_DEP_2)
	v_add_f16_e32 v99, v61, v82
	v_fma_f16 v71, v55, v18, -v54
	ds_load_2addr_b32 v[54:55], v94 offset0:160 offset1:220
	v_add_f16_e32 v58, v60, v71
	s_waitcnt lgkmcnt(0)
	v_lshrrev_b32_e32 v64, 16, v54
	v_mul_f16_e64 v83, v54, v250
	v_lshrrev_b32_e32 v87, 16, v55
	v_mul_f16_e64 v65, v55, v242
	s_delay_alu instid0(VALU_DEP_3) | instskip(SKIP_1) | instid1(VALU_DEP_3)
	v_fmac_f16_e32 v83, v64, v15
	v_mul_f16_e64 v64, v64, v250
	v_fmac_f16_e32 v65, v87, v19
	s_delay_alu instid0(VALU_DEP_3) | instskip(NEXT) | instid1(VALU_DEP_3)
	v_add_f16_e32 v100, v79, v83
	v_fma_f16 v84, v54, v15, -v64
	v_mul_f16_e64 v54, v87, v242
	s_delay_alu instid0(VALU_DEP_1)
	v_fma_f16 v64, v55, v19, -v54
	ds_load_2addr_b32 v[54:55], v103 offset0:8 offset1:68
	v_add_f16_e32 v67, v62, v64
	s_waitcnt lgkmcnt(0)
	v_lshrrev_b32_e32 v88, 16, v54
	v_mul_f16_e32 v90, v54, v95
	s_delay_alu instid0(VALU_DEP_1) | instskip(SKIP_1) | instid1(VALU_DEP_1)
	v_fmac_f16_e64 v90, v88, v209
	v_mul_f16_e32 v88, v88, v95
	v_fma_f16 v88, v54, v209, -v88
	v_lshrrev_b32_e32 v54, 16, v55
	s_delay_alu instid0(VALU_DEP_1) | instskip(SKIP_1) | instid1(VALU_DEP_2)
	v_mul_f16_e32 v95, v54, v96
	v_mul_f16_e32 v96, v55, v96
	v_fma_f16 v95, v55, v211, -v95
	s_delay_alu instid0(VALU_DEP_2) | instskip(NEXT) | instid1(VALU_DEP_2)
	v_fmac_f16_e64 v96, v54, v211
	v_add_f16_e32 v54, v71, v95
	v_add_f16_e32 v120, v58, v95
	s_delay_alu instid0(VALU_DEP_3) | instskip(NEXT) | instid1(VALU_DEP_3)
	v_add_f16_e64 v142, v99, v96
	v_fmac_f16_e32 v60, -0.5, v54
	ds_load_2addr_b32 v[54:55], v115 offset1:60
	s_waitcnt lgkmcnt(0)
	v_lshrrev_b32_e32 v66, 16, v55
	v_add_f16_e32 v87, v55, v62
	v_fmac_f16_e32 v55, -0.5, v67
	v_add_f16_e32 v67, v82, v96
	v_sub_f16_e32 v62, v62, v64
	s_delay_alu instid0(VALU_DEP_2) | instskip(SKIP_2) | instid1(VALU_DEP_2)
	v_fmac_f16_e32 v61, -0.5, v67
	v_sub_f16_e32 v67, v82, v96
	v_add_f16_e32 v82, v59, v84
	v_fmamk_f16 v114, v67, 0x3aee, v60
	v_fmac_f16_e32 v60, 0xbaee, v67
	v_sub_f16_e32 v67, v71, v95
	v_sub_f16_e32 v71, v63, v65
	v_fma_f16 v82, -0.5, v82, v54
	s_delay_alu instid0(VALU_DEP_3) | instskip(SKIP_1) | instid1(VALU_DEP_4)
	v_fmamk_f16 v116, v67, 0xbaee, v61
	v_fmac_f16_e32 v61, 0x3aee, v67
	v_fmamk_f16 v67, v71, 0x3aee, v55
	v_fmac_f16_e32 v55, 0xbaee, v71
	v_mul_f16_e32 v71, -0.5, v60
	s_delay_alu instid0(VALU_DEP_1) | instskip(SKIP_1) | instid1(VALU_DEP_2)
	v_fmac_f16_e32 v71, 0x3aee, v61
	v_mul_f16_e32 v61, -0.5, v61
	v_add_f16_e32 v118, v55, v71
	v_sub_f16_e32 v71, v55, v71
	v_lshrrev_b32_e32 v55, 16, v54
	v_add_f16_e32 v54, v54, v59
	v_sub_f16_e32 v59, v59, v84
	v_fmac_f16_e32 v61, 0xbaee, v60
	s_delay_alu instid0(VALU_DEP_4) | instskip(NEXT) | instid1(VALU_DEP_4)
	v_add_f16_e32 v101, v55, v79
	v_add_f16_e32 v54, v54, v84
	;; [unrolled: 1-line block ×3, first 2 shown]
	v_fmac_f16_e32 v55, -0.5, v100
	v_add_f16_e32 v100, v57, v81
	v_sub_f16_e32 v79, v79, v83
	s_delay_alu instid0(VALU_DEP_4) | instskip(SKIP_2) | instid1(VALU_DEP_2)
	v_fmac_f16_e32 v57, -0.5, v84
	v_add_f16_e32 v84, v80, v90
	v_sub_f16_e32 v80, v80, v90
	v_fmac_f16_e32 v56, -0.5, v84
	v_fmamk_f16 v84, v79, 0x3aee, v82
	v_fmac_f16_e32 v82, 0xbaee, v79
	v_add_f16_e32 v79, v101, v83
	v_fmamk_f16 v83, v80, 0x3aee, v57
	v_fmac_f16_e32 v57, 0xbaee, v80
	v_fmamk_f16 v80, v59, 0xbaee, v55
	v_fmac_f16_e32 v55, 0x3aee, v59
	v_sub_f16_e32 v59, v81, v88
	v_add_f16_e32 v81, v100, v88
	s_delay_alu instid0(VALU_DEP_2) | instskip(SKIP_2) | instid1(VALU_DEP_3)
	v_fmamk_f16 v88, v59, 0xbaee, v56
	v_fmac_f16_e32 v56, 0x3aee, v59
	v_add_f16_e32 v59, v102, v90
	v_mul_f16_e32 v90, 0x3aee, v88
	s_delay_alu instid0(VALU_DEP_1) | instskip(SKIP_1) | instid1(VALU_DEP_1)
	v_fmac_f16_e32 v90, 0.5, v83
	v_mul_f16_e32 v83, 0xbaee, v83
	v_fmac_f16_e32 v83, 0.5, v88
	v_mul_f16_e32 v88, -0.5, v57
	s_delay_alu instid0(VALU_DEP_1) | instskip(SKIP_1) | instid1(VALU_DEP_1)
	v_fmac_f16_e32 v88, 0x3aee, v56
	v_mul_f16_e32 v56, -0.5, v56
	v_fmac_f16_e32 v56, 0xbaee, v57
	v_add_f16_e32 v57, v54, v81
	v_sub_f16_e32 v54, v54, v81
	v_add_f16_e32 v81, v84, v90
	v_sub_f16_e32 v84, v84, v90
	;; [unrolled: 2-line block ×6, first 2 shown]
	v_pack_b32_f16 v56, v57, v88
	v_pack_b32_f16 v57, v81, v79
	v_add_f16_e32 v79, v66, v63
	v_pack_b32_f16 v58, v90, v83
	v_add_f16_e32 v90, v87, v64
	v_pack_b32_f16 v54, v54, v59
	v_pack_b32_f16 v59, v84, v80
	v_add_f16_e64 v144, v79, v65
	v_pack_b32_f16 v55, v82, v55
	v_add_f16_e32 v79, v90, v120
	v_add_f16_e32 v63, v63, v65
	v_mul_f16_e32 v64, 0xbaee, v114
	v_add_f16_e64 v80, v144, v142
	v_sub_f16_e32 v65, v90, v120
	s_delay_alu instid0(VALU_DEP_4) | instskip(SKIP_1) | instid1(VALU_DEP_4)
	v_fmac_f16_e32 v66, -0.5, v63
	v_mul_f16_e32 v63, 0x3aee, v116
	v_pack_b32_f16 v132, v79, v80
	ds_load_2addr_b32 v[79:80], v115 offset0:120 offset1:180
	ds_load_2addr_b32 v[81:82], v93 offset0:176 offset1:236
	ds_store_b32 v115, v57 offset:1440
	ds_load_2addr_b32 v[83:84], v89 offset0:96 offset1:156
	ds_load_2addr_b32 v[87:88], v97 offset0:72 offset1:132
	;; [unrolled: 1-line block ×10, first 2 shown]
	ds_store_b32 v115, v58 offset:2880
	ds_store_b32 v115, v54 offset:4320
	ds_store_b32 v115, v59 offset:5760
	ds_store_b32 v115, v55 offset:7200
	ds_store_2addr_b32 v115, v56, v132 offset1:60
	s_clause 0x1
	global_load_b32 v227, v[52:53], off offset:2616
	global_load_b128 v[56:59], v[52:53], off offset:2600
	v_add_co_u32 v132, s0, 0x4b0, v52
	s_delay_alu instid0(VALU_DEP_1) | instskip(SKIP_1) | instid1(VALU_DEP_1)
	v_add_co_ci_u32_e64 v133, s0, 0, v53, s0
	v_add_co_u32 v138, s0, 0x960, v52
	v_add_co_ci_u32_e64 v139, s0, 0, v53, s0
	s_waitcnt lgkmcnt(14)
	v_lshrrev_b32_e32 v143, 16, v83
	v_lshrrev_b32_e32 v145, 16, v84
	s_waitcnt lgkmcnt(12)
	v_lshrrev_b32_e32 v197, 16, v96
	s_waitcnt lgkmcnt(11)
	v_lshrrev_b32_e32 v201, 16, v99
	v_fmac_f16_e32 v63, 0.5, v114
	v_fmac_f16_e32 v64, 0.5, v116
	v_lshrrev_b32_e32 v114, 16, v80
	v_lshrrev_b32_e32 v171, 16, v82
	s_delay_alu instid0(VALU_DEP_4)
	v_add_f16_e64 v222, v67, v63
	v_sub_f16_e32 v63, v67, v63
	s_waitcnt vmcnt(1)
	v_lshrrev_b32_e32 v204, 16, v227
	s_waitcnt vmcnt(0)
	v_lshrrev_b32_e32 v154, 16, v56
	v_lshrrev_b32_e32 v155, 16, v57
	;; [unrolled: 1-line block ×4, first 2 shown]
	v_mul_f16_e64 v203, v99, v204
	v_mul_f16_e64 v54, v143, v154
	;; [unrolled: 1-line block ×5, first 2 shown]
	v_fmac_f16_e64 v203, v201, v227
	v_fma_f16 v146, v83, v56, -v54
	s_clause 0x1
	global_load_b32 v212, v[52:53], off offset:3816
	global_load_b128 v[52:55], v[52:53], off offset:3800
	v_mul_f16_e64 v83, v83, v154
	v_mul_f16_e64 v201, v201, v204
	s_delay_alu instid0(VALU_DEP_2) | instskip(NEXT) | instid1(VALU_DEP_2)
	v_fmac_f16_e64 v83, v143, v56
	v_fma_f16 v99, v99, v227, -v201
	v_lshrrev_b32_e32 v201, 16, v100
	s_waitcnt vmcnt(1)
	v_lshrrev_b32_e32 v217, 16, v212
	s_waitcnt vmcnt(0)
	v_lshrrev_b32_e32 v140, 16, v52
	v_lshrrev_b32_e32 v143, 16, v53
	s_delay_alu instid0(VALU_DEP_3) | instskip(NEXT) | instid1(VALU_DEP_3)
	v_mul_f16_e64 v204, v201, v217
	v_mul_f16_e64 v147, v145, v140
	;; [unrolled: 1-line block ×3, first 2 shown]
	s_delay_alu instid0(VALU_DEP_3) | instskip(NEXT) | instid1(VALU_DEP_3)
	v_fma_f16 v204, v100, v212, -v204
	v_fma_f16 v148, v84, v52, -v147
	v_lshrrev_b32_e32 v84, 16, v87
	s_delay_alu instid0(VALU_DEP_4) | instskip(SKIP_1) | instid1(VALU_DEP_3)
	v_fmac_f16_e64 v150, v145, v52
	v_mul_f16_e64 v100, v100, v217
	v_fmac_f16_e64 v151, v84, v57
	v_mul_f16_e64 v84, v84, v155
	s_delay_alu instid0(VALU_DEP_3) | instskip(NEXT) | instid1(VALU_DEP_2)
	v_fmac_f16_e64 v100, v201, v212
	v_fma_f16 v84, v87, v57, -v84
	v_lshrrev_b32_e32 v87, 16, v88
	s_delay_alu instid0(VALU_DEP_1) | instskip(NEXT) | instid1(VALU_DEP_1)
	v_mul_f16_e64 v145, v87, v143
	v_fma_f16 v153, v88, v53, -v145
	v_lshrrev_b32_e32 v145, 16, v81
	v_mul_f16_e64 v88, v88, v143
	s_delay_alu instid0(VALU_DEP_3) | instskip(NEXT) | instid1(VALU_DEP_3)
	v_add_f16_e64 v116, v80, v153
	v_fmac_f16_e64 v170, v145, v58
	v_mul_f16_e64 v145, v145, v156
	s_delay_alu instid0(VALU_DEP_4) | instskip(SKIP_1) | instid1(VALU_DEP_4)
	v_fmac_f16_e32 v88, v87, v53
	v_sub_f16_e64 v87, v144, v142
	v_add_f16_e64 v219, v83, v170
	s_delay_alu instid0(VALU_DEP_4) | instskip(SKIP_1) | instid1(VALU_DEP_4)
	v_fma_f16 v81, v81, v58, -v145
	v_lshrrev_b32_e32 v145, 16, v54
	v_pack_b32_f16 v65, v65, v87
	s_delay_alu instid0(VALU_DEP_3) | instskip(NEXT) | instid1(VALU_DEP_3)
	v_add_f16_e64 v218, v146, v81
	v_mul_f16_e64 v147, v171, v145
	s_delay_alu instid0(VALU_DEP_1) | instskip(SKIP_2) | instid1(VALU_DEP_3)
	v_fma_f16 v175, v82, v54, -v147
	v_lshrrev_b32_e32 v147, 16, v95
	v_mul_f16_e64 v82, v82, v145
	v_add_f16_e64 v120, v148, v175
	s_delay_alu instid0(VALU_DEP_3) | instskip(SKIP_1) | instid1(VALU_DEP_4)
	v_fmac_f16_e64 v178, v147, v59
	v_mul_f16_e64 v147, v147, v157
	v_fmac_f16_e64 v82, v171, v54
	s_delay_alu instid0(VALU_DEP_3) | instskip(NEXT) | instid1(VALU_DEP_3)
	v_sub_f16_e64 v87, v151, v178
	v_fma_f16 v95, v95, v59, -v147
	v_lshrrev_b32_e32 v147, 16, v55
	s_delay_alu instid0(VALU_DEP_2) | instskip(NEXT) | instid1(VALU_DEP_2)
	v_add_f16_e64 v171, v84, v95
	v_mul_f16_e64 v200, v197, v147
	s_delay_alu instid0(VALU_DEP_2) | instskip(NEXT) | instid1(VALU_DEP_2)
	v_fma_f16 v171, -0.5, v171, v79
	v_fma_f16 v200, v96, v55, -v200
	v_mul_f16_e64 v96, v96, v147
	s_delay_alu instid0(VALU_DEP_2) | instskip(NEXT) | instid1(VALU_DEP_2)
	v_add_f16_e64 v90, v153, v200
	v_fmac_f16_e64 v96, v197, v55
	s_delay_alu instid0(VALU_DEP_2) | instskip(NEXT) | instid1(VALU_DEP_2)
	v_fmac_f16_e32 v80, -0.5, v90
	v_sub_f16_e32 v90, v88, v96
	s_delay_alu instid0(VALU_DEP_1) | instskip(SKIP_2) | instid1(VALU_DEP_1)
	v_fma_f16 v142, 0x3aee, v90, v80
	v_fmac_f16_e32 v80, 0xbaee, v90
	v_add_f16_e64 v90, v175, v204
	v_fmac_f16_e64 v148, -0.5, v90
	v_sub_f16_e32 v90, v82, v100
	s_delay_alu instid0(VALU_DEP_1) | instskip(SKIP_3) | instid1(VALU_DEP_2)
	v_fma_f16 v144, 0x3aee, v90, v148
	v_fmac_f16_e64 v148, 0xbaee, v90
	v_add_f16_e32 v90, v82, v100
	v_add_f16_e64 v82, v150, v82
	v_fmac_f16_e64 v150, -0.5, v90
	v_sub_f16_e64 v90, v175, v204
	s_delay_alu instid0(VALU_DEP_1) | instskip(SKIP_2) | instid1(VALU_DEP_1)
	v_fma_f16 v197, 0xbaee, v90, v150
	v_fmac_f16_e64 v150, 0x3aee, v90
	v_mul_f16_e64 v90, -0.5, v148
	v_fmac_f16_e64 v90, 0x3aee, v150
	s_delay_alu instid0(VALU_DEP_1)
	v_add_f16_e64 v201, v80, v90
	v_sub_f16_e64 v217, v80, v90
	v_lshrrev_b32_e32 v80, 16, v79
	v_add_f16_e64 v90, v151, v178
	v_add_f16_e32 v79, v79, v84
	v_sub_f16_e32 v84, v84, v95
	s_delay_alu instid0(VALU_DEP_4) | instskip(NEXT) | instid1(VALU_DEP_4)
	v_add_f16_e64 v175, v80, v151
	v_fmac_f16_e32 v80, -0.5, v90
	v_add_f16_e32 v90, v81, v99
	v_sub_f16_e32 v81, v81, v99
	v_fma_f16 v151, 0x3aee, v87, v171
	v_fmac_f16_e64 v171, 0xbaee, v87
	s_delay_alu instid0(VALU_DEP_4) | instskip(SKIP_1) | instid1(VALU_DEP_1)
	v_fmac_f16_e64 v146, -0.5, v90
	v_add_f16_e64 v90, v170, v203
	v_fmac_f16_e32 v83, -0.5, v90
	v_sub_f16_e64 v90, v170, v203
	s_delay_alu instid0(VALU_DEP_2) | instskip(NEXT) | instid1(VALU_DEP_2)
	v_fma_f16 v170, 0xbaee, v81, v83
	v_fma_f16 v220, 0x3aee, v90, v146
	v_fmac_f16_e64 v146, 0xbaee, v90
	v_fmac_f16_e32 v83, 0x3aee, v81
	v_add_nc_u32_e32 v90, 0x1600, v115
	v_mul_f16_e64 v221, 0x3aee, v170
	s_delay_alu instid0(VALU_DEP_4) | instskip(NEXT) | instid1(VALU_DEP_2)
	v_mul_f16_e64 v60, -0.5, v146
	v_fmac_f16_e64 v221, 0.5, v220
	v_mul_f16_e64 v220, 0xbaee, v220
	s_delay_alu instid0(VALU_DEP_3) | instskip(NEXT) | instid1(VALU_DEP_3)
	v_fmac_f16_e32 v60, 0x3aee, v83
	v_add_f16_e64 v224, v151, v221
	s_delay_alu instid0(VALU_DEP_3)
	v_fmac_f16_e64 v220, 0.5, v170
	v_fma_f16 v170, 0xbaee, v62, v66
	v_fmac_f16_e32 v66, 0x3aee, v62
	v_mul_f16_e32 v62, -0.5, v83
	v_add_f16_e64 v81, v171, v60
	v_sub_f16_e64 v60, v171, v60
	v_add_f16_e64 v223, v170, v64
	v_sub_f16_e64 v64, v170, v64
	v_fmac_f16_e64 v62, 0xbaee, v146
	v_sub_f16_e64 v67, v151, v221
	s_delay_alu instid0(VALU_DEP_4) | instskip(SKIP_3) | instid1(VALU_DEP_3)
	v_pack_b32_f16 v222, v222, v223
	v_fma_f16 v223, 0xbaee, v84, v80
	v_fmac_f16_e32 v80, 0x3aee, v84
	v_pack_b32_f16 v63, v63, v64
	v_add_f16_e64 v225, v223, v220
	s_delay_alu instid0(VALU_DEP_3)
	v_add_f16_e32 v83, v80, v62
	v_sub_f16_e32 v62, v80, v62
	s_waitcnt lgkmcnt(9)
	v_lshrrev_b32_e32 v80, 16, v105
	v_pack_b32_f16 v224, v224, v225
	ds_store_b32 v115, v65 offset:4560
	ds_store_2addr_b32 v91, v222, v224 offset0:164 offset1:224
	v_add_f16_e32 v65, v66, v61
	v_pack_b32_f16 v81, v81, v83
	v_add_f16_e64 v83, v219, v203
	v_sub_f16_e32 v61, v66, v61
	v_pack_b32_f16 v60, v60, v62
	v_pack_b32_f16 v65, v118, v65
	s_delay_alu instid0(VALU_DEP_3)
	v_pack_b32_f16 v61, v71, v61
	ds_store_2addr_b32 v97, v65, v81 offset0:12 offset1:72
	v_add_f16_e32 v65, v79, v95
	v_add_f16_e64 v79, v175, v178
	v_add_f16_e64 v81, v218, v99
	v_add_f16_e32 v95, v82, v100
	v_add_f16_e64 v99, v116, v200
	s_delay_alu instid0(VALU_DEP_4) | instskip(NEXT) | instid1(VALU_DEP_4)
	v_sub_f16_e32 v87, v79, v83
	v_sub_f16_e32 v84, v65, v81
	s_delay_alu instid0(VALU_DEP_1)
	v_pack_b32_f16 v84, v84, v87
	v_sub_f16_e64 v87, v223, v220
	ds_store_b32 v115, v84 offset:4800
	ds_store_2addr_b32 v103, v61, v60 offset0:68 offset1:128
	v_add_f16_e32 v60, v65, v81
	v_add_f16_e32 v61, v79, v83
	v_pack_b32_f16 v64, v67, v87
	v_add_f16_e64 v87, v120, v204
	v_lshrrev_b32_e32 v79, 16, v104
	s_waitcnt lgkmcnt(11)
	v_lshrrev_b32_e32 v83, 16, v110
	v_pack_b32_f16 v60, v60, v61
	v_add_f16_e32 v61, v114, v88
	ds_store_2addr_b32 v90, v63, v64 offset0:92 offset1:152
	v_add_f16_e32 v88, v88, v96
	v_add_f16_e32 v100, v61, v96
	;; [unrolled: 1-line block ×3, first 2 shown]
	s_delay_alu instid0(VALU_DEP_3)
	v_fmac_f16_e32 v114, -0.5, v88
	v_sub_f16_e64 v88, v153, v200
	v_mul_f16_e64 v153, 0x3aee, v197
	v_add_f16_e32 v62, v100, v95
	v_sub_f16_e32 v87, v99, v87
	v_sub_f16_e32 v95, v100, v95
	s_delay_alu instid0(VALU_DEP_4) | instskip(NEXT) | instid1(VALU_DEP_4)
	v_fmac_f16_e64 v153, 0.5, v144
	v_pack_b32_f16 v61, v61, v62
	v_mul_f16_e64 v144, 0xbaee, v144
	s_delay_alu instid0(VALU_DEP_4) | instskip(NEXT) | instid1(VALU_DEP_4)
	v_pack_b32_f16 v87, v87, v95
	v_add_f16_e64 v225, v142, v153
	ds_store_2addr_b32 v115, v60, v61 offset0:120 offset1:180
	s_clause 0x1
	global_load_b32 v231, v[132:133], off offset:3816
	global_load_b128 v[64:67], v[132:133], off offset:3800
	v_fmac_f16_e64 v144, 0.5, v197
	v_lshrrev_b32_e32 v197, 16, v102
	s_waitcnt vmcnt(1)
	v_lshrrev_b32_e32 v204, 16, v231
	s_waitcnt vmcnt(0)
	v_lshrrev_b32_e32 v71, 16, v64
	v_lshrrev_b32_e32 v116, 16, v65
	;; [unrolled: 1-line block ×4, first 2 shown]
	s_waitcnt lgkmcnt(12)
	v_mul_f16_e64 v203, v112, v204
	v_mul_f16_e32 v60, v79, v71
	v_mul_f16_e64 v146, v108, v118
	s_delay_alu instid0(VALU_DEP_2)
	v_fma_f16 v132, v104, v64, -v60
	s_clause 0x1
	global_load_b32 v228, v[138:139], off offset:3816
	global_load_b128 v[60:63], v[138:139], off offset:3800
	v_mul_f16_e32 v104, v104, v71
	v_mul_f16_e64 v138, v106, v116
	s_delay_alu instid0(VALU_DEP_2) | instskip(SKIP_1) | instid1(VALU_DEP_1)
	v_fmac_f16_e32 v104, v79, v64
	v_lshrrev_b32_e32 v79, 16, v106
	v_fmac_f16_e64 v138, v79, v65
	v_mul_f16_e32 v79, v79, v116
	s_delay_alu instid0(VALU_DEP_1)
	v_fma_f16 v106, v106, v65, -v79
	v_lshrrev_b32_e32 v79, 16, v107
	s_waitcnt vmcnt(1)
	v_lshrrev_b32_e32 v218, 16, v228
	s_waitcnt vmcnt(0)
	v_lshrrev_b32_e32 v170, 16, v60
	v_lshrrev_b32_e32 v171, 16, v61
	v_lshrrev_b32_e32 v175, 16, v62
	v_lshrrev_b32_e32 v178, 16, v63
	s_delay_alu instid0(VALU_DEP_4) | instskip(NEXT) | instid1(VALU_DEP_3)
	v_mul_f16_e64 v81, v80, v170
	v_mul_f16_e64 v82, v109, v175
	s_delay_alu instid0(VALU_DEP_2) | instskip(SKIP_1) | instid1(VALU_DEP_1)
	v_fma_f16 v133, v105, v60, -v81
	v_mul_f16_e64 v105, v105, v170
	v_fmac_f16_e32 v105, v80, v60
	v_mul_f16_e64 v80, v79, v171
	s_delay_alu instid0(VALU_DEP_1) | instskip(SKIP_2) | instid1(VALU_DEP_2)
	v_fma_f16 v139, v107, v61, -v80
	v_lshrrev_b32_e32 v80, 16, v108
	v_mul_f16_e64 v107, v107, v171
	v_fmac_f16_e64 v146, v80, v66
	v_mul_f16_e32 v80, v80, v118
	s_delay_alu instid0(VALU_DEP_3) | instskip(NEXT) | instid1(VALU_DEP_3)
	v_fmac_f16_e32 v107, v79, v61
	v_add_f16_e64 v222, v104, v146
	s_delay_alu instid0(VALU_DEP_3) | instskip(SKIP_1) | instid1(VALU_DEP_2)
	v_fma_f16 v108, v108, v66, -v80
	v_lshrrev_b32_e32 v80, 16, v109
	v_add_f16_e64 v221, v132, v108
	s_delay_alu instid0(VALU_DEP_2) | instskip(SKIP_2) | instid1(VALU_DEP_3)
	v_mul_f16_e64 v81, v80, v175
	v_fmac_f16_e32 v82, v80, v62
	v_add_f16_e64 v80, v102, v139
	v_fma_f16 v81, v109, v62, -v81
	v_mul_f16_e32 v109, v110, v120
	s_delay_alu instid0(VALU_DEP_4) | instskip(NEXT) | instid1(VALU_DEP_2)
	v_add_f16_e64 v200, v105, v82
	v_fmac_f16_e32 v109, v83, v67
	v_mul_f16_e32 v83, v83, v120
	s_delay_alu instid0(VALU_DEP_1) | instskip(SKIP_1) | instid1(VALU_DEP_1)
	v_fma_f16 v110, v110, v67, -v83
	v_lshrrev_b32_e32 v83, 16, v111
	v_mul_f16_e64 v84, v83, v178
	s_delay_alu instid0(VALU_DEP_1) | instskip(SKIP_2) | instid1(VALU_DEP_3)
	v_fma_f16 v151, v111, v63, -v84
	v_lshrrev_b32_e32 v84, 16, v112
	v_mul_f16_e64 v111, v111, v178
	v_add_f16_e64 v79, v139, v151
	s_delay_alu instid0(VALU_DEP_3) | instskip(SKIP_1) | instid1(VALU_DEP_4)
	v_fmac_f16_e64 v203, v84, v231
	v_mul_f16_e64 v84, v84, v204
	v_fmac_f16_e32 v111, v83, v63
	v_add_f16_e64 v83, v133, v81
	v_fmac_f16_e32 v102, -0.5, v79
	v_add_f16_e64 v80, v80, v151
	v_fma_f16 v112, v112, v231, -v84
	v_lshrrev_b32_e32 v84, 16, v113
	v_sub_f16_e32 v79, v107, v111
	s_delay_alu instid0(VALU_DEP_2) | instskip(NEXT) | instid1(VALU_DEP_2)
	v_mul_f16_e64 v204, v84, v218
	v_fmamk_f16 v96, v79, 0x3aee, v102
	v_fmac_f16_e32 v102, 0xbaee, v79
	s_delay_alu instid0(VALU_DEP_3) | instskip(SKIP_1) | instid1(VALU_DEP_2)
	v_fma_f16 v204, v113, v228, -v204
	v_mul_f16_e64 v113, v113, v218
	v_add_f16_e64 v79, v81, v204
	s_delay_alu instid0(VALU_DEP_2) | instskip(SKIP_1) | instid1(VALU_DEP_3)
	v_fmac_f16_e64 v113, v84, v228
	v_sub_f16_e64 v81, v81, v204
	v_fmac_f16_e64 v133, -0.5, v79
	s_delay_alu instid0(VALU_DEP_3) | instskip(SKIP_1) | instid1(VALU_DEP_2)
	v_add_f16_e32 v79, v82, v113
	v_sub_f16_e32 v82, v82, v113
	v_fmac_f16_e32 v105, -0.5, v79
	v_add_f16_e64 v79, v83, v204
	s_delay_alu instid0(VALU_DEP_3) | instskip(SKIP_1) | instid1(VALU_DEP_4)
	v_fma_f16 v204, 0x3aee, v82, v133
	v_fmac_f16_e64 v133, 0xbaee, v82
	v_fma_f16 v218, 0xbaee, v81, v105
	v_fmac_f16_e32 v105, 0x3aee, v81
	v_add_f16_e32 v81, v80, v79
	s_delay_alu instid0(VALU_DEP_4) | instskip(SKIP_2) | instid1(VALU_DEP_3)
	v_mul_f16_e64 v220, -0.5, v133
	v_sub_f16_e32 v84, v80, v79
	v_mul_f16_e64 v219, 0x3aee, v218
	v_fmac_f16_e64 v220, 0x3aee, v105
	s_delay_alu instid0(VALU_DEP_2) | instskip(NEXT) | instid1(VALU_DEP_2)
	v_fmac_f16_e64 v219, 0.5, v204
	v_add_f16_e64 v83, v102, v220
	v_sub_f16_e64 v80, v102, v220
	s_delay_alu instid0(VALU_DEP_3) | instskip(SKIP_3) | instid1(VALU_DEP_2)
	v_add_f16_e64 v82, v96, v219
	v_sub_f16_e64 v79, v96, v219
	v_add_f16_e32 v96, v106, v110
	v_lshrrev_b32_e32 v219, 16, v101
	v_fma_f16 v102, -0.5, v96, v101
	v_add_f16_e32 v96, v101, v106
	v_add_f16_e64 v101, v138, v109
	s_delay_alu instid0(VALU_DEP_4)
	v_add_f16_e64 v220, v219, v138
	v_sub_f16_e64 v138, v138, v109
	v_sub_f16_e32 v106, v106, v110
	v_add_f16_e32 v99, v96, v110
	v_fmac_f16_e64 v219, -0.5, v101
	v_add_f16_e32 v101, v108, v112
	v_add_f16_e64 v100, v220, v109
	s_delay_alu instid0(VALU_DEP_3) | instskip(NEXT) | instid1(VALU_DEP_3)
	v_fma_f16 v229, 0xbaee, v106, v219
	v_fmac_f16_e64 v132, -0.5, v101
	v_add_f16_e64 v101, v146, v203
	v_fmac_f16_e64 v219, 0x3aee, v106
	s_delay_alu instid0(VALU_DEP_2) | instskip(SKIP_2) | instid1(VALU_DEP_2)
	v_fmac_f16_e32 v104, -0.5, v101
	v_sub_f16_e32 v101, v108, v112
	v_sub_f16_e64 v108, v146, v203
	v_fma_f16 v146, 0xbaee, v101, v104
	s_delay_alu instid0(VALU_DEP_2) | instskip(SKIP_2) | instid1(VALU_DEP_4)
	v_fma_f16 v223, 0x3aee, v108, v132
	v_fmac_f16_e64 v132, 0xbaee, v108
	v_fmac_f16_e32 v104, 0x3aee, v101
	v_mul_f16_e64 v224, 0x3aee, v146
	s_delay_alu instid0(VALU_DEP_3) | instskip(NEXT) | instid1(VALU_DEP_2)
	v_mul_f16_e64 v101, -0.5, v132
	v_fmac_f16_e64 v224, 0.5, v223
	v_mul_f16_e64 v223, 0xbaee, v223
	s_delay_alu instid0(VALU_DEP_3) | instskip(SKIP_1) | instid1(VALU_DEP_3)
	v_fmac_f16_e32 v101, 0x3aee, v104
	v_mul_f16_e32 v104, -0.5, v104
	v_fmac_f16_e64 v223, 0.5, v146
	v_fma_f16 v146, 0xbaee, v88, v114
	v_fmac_f16_e32 v114, 0x3aee, v88
	v_mul_f16_e64 v88, -0.5, v150
	v_fmac_f16_e64 v104, 0xbaee, v132
	v_sub_f16_e64 v110, v229, v223
	v_add_f16_e64 v226, v146, v144
	v_add_f16_e64 v232, v229, v223
	v_fmac_f16_e64 v88, 0xbaee, v148
	v_add_f16_e64 v132, v219, v104
	s_delay_alu instid0(VALU_DEP_4) | instskip(SKIP_3) | instid1(VALU_DEP_3)
	v_pack_b32_f16 v225, v225, v226
	v_fma_f16 v226, 0x3aee, v138, v102
	v_fmac_f16_e64 v102, 0xbaee, v138
	v_add_f16_e32 v106, v114, v88
	v_sub_f16_e64 v109, v226, v224
	s_delay_alu instid0(VALU_DEP_3) | instskip(NEXT) | instid1(VALU_DEP_3)
	v_add_f16_e32 v108, v102, v101
	v_pack_b32_f16 v106, v201, v106
	v_add_f16_e64 v230, v226, v224
	s_delay_alu instid0(VALU_DEP_3) | instskip(NEXT) | instid1(VALU_DEP_2)
	v_pack_b32_f16 v108, v108, v132
	v_pack_b32_f16 v230, v230, v232
	ds_store_2addr_b32 v97, v106, v108 offset0:132 offset1:192
	v_add_f16_e64 v106, v221, v112
	v_add_f16_e64 v108, v222, v203
	ds_store_2addr_b32 v98, v225, v230 offset0:28 offset1:88
	v_sub_f16_e32 v95, v99, v106
	v_sub_f16_e32 v96, v100, v108
	s_delay_alu instid0(VALU_DEP_1) | instskip(SKIP_4) | instid1(VALU_DEP_1)
	v_pack_b32_f16 v95, v95, v96
	v_add_nc_u32_e32 v96, 0x1200, v115
	ds_store_2addr_b32 v96, v87, v95 offset0:108 offset1:168
	v_sub_f16_e64 v87, v142, v153
	v_sub_f16_e64 v95, v146, v144
	v_pack_b32_f16 v87, v87, v95
	v_pack_b32_f16 v95, v109, v110
	ds_store_2addr_b32 v130, v87, v95 offset0:84 offset1:144
	v_sub_f16_e32 v87, v114, v88
	v_sub_f16_e32 v88, v102, v101
	v_sub_f16_e64 v95, v219, v104
	s_delay_alu instid0(VALU_DEP_3) | instskip(NEXT) | instid1(VALU_DEP_2)
	v_pack_b32_f16 v87, v217, v87
	v_pack_b32_f16 v88, v88, v95
	v_add_f16_e64 v95, v200, v113
	ds_store_2addr_b32 v103, v87, v88 offset0:188 offset1:248
	v_add_f16_e32 v87, v99, v106
	v_add_f16_e32 v88, v100, v108
	v_mul_f16_e32 v100, -0.5, v105
	s_delay_alu instid0(VALU_DEP_2) | instskip(SKIP_1) | instid1(VALU_DEP_3)
	v_pack_b32_f16 v87, v87, v88
	v_add_f16_e64 v88, v197, v107
	v_fmac_f16_e64 v100, 0xbaee, v133
	s_delay_alu instid0(VALU_DEP_2) | instskip(NEXT) | instid1(VALU_DEP_1)
	v_add_f16_e32 v88, v88, v111
	v_add_f16_e64 v138, v88, v95
	v_sub_f16_e64 v144, v88, v95
	v_lshlrev_b32_e32 v95, 2, v174
	s_delay_alu instid0(VALU_DEP_3) | instskip(SKIP_2) | instid1(VALU_DEP_1)
	v_pack_b32_f16 v99, v81, v138
	ds_store_2addr_b32 v86, v87, v99 offset0:112 offset1:172
	v_add_f16_e32 v87, v107, v111
	v_fmac_f16_e64 v197, -0.5, v87
	v_sub_f16_e64 v87, v139, v151
	s_delay_alu instid0(VALU_DEP_1) | instskip(SKIP_2) | instid1(VALU_DEP_2)
	v_fma_f16 v99, 0xbaee, v87, v197
	v_fmac_f16_e64 v197, 0x3aee, v87
	v_mul_f16_e64 v87, 0xbaee, v204
	v_add_f16_e64 v133, v197, v100
	s_delay_alu instid0(VALU_DEP_2) | instskip(SKIP_1) | instid1(VALU_DEP_3)
	v_fmac_f16_e64 v87, 0.5, v218
	v_sub_f16_e64 v139, v197, v100
	v_pack_b32_f16 v88, v83, v133
	s_delay_alu instid0(VALU_DEP_3) | instskip(SKIP_1) | instid1(VALU_DEP_2)
	v_add_f16_e64 v142, v99, v87
	v_sub_f16_e64 v132, v99, v87
	v_pack_b32_f16 v87, v82, v142
	ds_store_b32 v115, v87 offset:2640
	v_pack_b32_f16 v87, v84, v144
	ds_store_b32 v115, v88 offset:4080
	;; [unrolled: 2-line block ×4, first 2 shown]
	ds_store_b32 v115, v87 offset:8400
	s_waitcnt lgkmcnt(0)
	s_barrier
	buffer_gl0_inv
	s_clause 0x5
	global_load_b32 v87, v95, s[2:3] offset:1104
	global_load_b32 v146, v95, s[2:3] offset:240
	;; [unrolled: 1-line block ×4, first 2 shown]
	global_load_b32 v197, v85, s[2:3]
	global_load_b32 v85, v95, s[2:3]
	ds_load_2addr_b32 v[99:100], v115 offset1:60
	s_waitcnt lgkmcnt(0)
	v_lshrrev_b32_e32 v101, 16, v99
	s_waitcnt vmcnt(0)
	v_lshrrev_b32_e32 v88, 16, v85
	s_delay_alu instid0(VALU_DEP_1) | instskip(NEXT) | instid1(VALU_DEP_3)
	v_mul_f16_e32 v102, v99, v88
	v_mul_f16_e32 v88, v101, v88
	s_delay_alu instid0(VALU_DEP_2) | instskip(NEXT) | instid1(VALU_DEP_2)
	v_fmac_f16_e32 v102, v101, v85
	v_fma_f16 v85, v99, v85, -v88
	s_delay_alu instid0(VALU_DEP_1)
	v_pack_b32_f16 v85, v85, v102
	ds_store_b32 v115, v85
	global_load_b32 v85, v95, s[2:3] offset:864
	ds_load_2addr_b32 v[104:105], v115 offset0:120 offset1:216
	ds_load_2addr_b32 v[101:102], v91 offset0:20 offset1:80
	s_waitcnt lgkmcnt(1)
	v_lshrrev_b32_e32 v99, 16, v105
	s_waitcnt vmcnt(0)
	v_lshrrev_b32_e32 v88, 16, v85
	s_delay_alu instid0(VALU_DEP_1) | instskip(NEXT) | instid1(VALU_DEP_3)
	v_mul_f16_e32 v106, v105, v88
	v_mul_f16_e32 v88, v99, v88
	s_delay_alu instid0(VALU_DEP_2) | instskip(NEXT) | instid1(VALU_DEP_2)
	v_fmac_f16_e32 v106, v99, v85
	v_fma_f16 v85, v105, v85, -v88
	v_lshrrev_b32_e32 v88, 16, v87
	s_waitcnt lgkmcnt(0)
	v_lshrrev_b32_e32 v99, 16, v101
	s_delay_alu instid0(VALU_DEP_3) | instskip(NEXT) | instid1(VALU_DEP_3)
	v_pack_b32_f16 v85, v85, v106
	v_mul_f16_e32 v105, v101, v88
	s_delay_alu instid0(VALU_DEP_3) | instskip(NEXT) | instid1(VALU_DEP_2)
	v_mul_f16_e32 v88, v99, v88
	v_fmac_f16_e32 v105, v99, v87
	s_delay_alu instid0(VALU_DEP_2) | instskip(NEXT) | instid1(VALU_DEP_1)
	v_fma_f16 v87, v101, v87, -v88
	v_pack_b32_f16 v87, v87, v105
	ds_store_2addr_b32 v86, v85, v87 offset0:88 offset1:148
	v_add_co_u32 v87, s0, s2, v95
	s_delay_alu instid0(VALU_DEP_1) | instskip(NEXT) | instid1(VALU_DEP_2)
	v_add_co_ci_u32_e64 v88, null, s3, 0, s0
	v_add_co_u32 v85, s0, 0x1000, v87
	s_delay_alu instid0(VALU_DEP_1)
	v_add_co_ci_u32_e64 v86, s0, 0, v88, s0
	s_clause 0x2
	global_load_b32 v99, v[85:86], off offset:1952
	global_load_b32 v101, v[85:86], off offset:2192
	;; [unrolled: 1-line block ×3, first 2 shown]
	ds_load_2addr_b32 v[105:106], v94 offset0:136 offset1:232
	s_waitcnt lgkmcnt(0)
	v_lshrrev_b32_e32 v108, 16, v106
	s_waitcnt vmcnt(2)
	v_lshrrev_b32_e32 v107, 16, v99
	s_delay_alu instid0(VALU_DEP_1) | instskip(NEXT) | instid1(VALU_DEP_3)
	v_mul_f16_e32 v109, v106, v107
	v_mul_f16_e32 v107, v108, v107
	s_delay_alu instid0(VALU_DEP_2) | instskip(NEXT) | instid1(VALU_DEP_2)
	v_fmac_f16_e32 v109, v108, v99
	v_fma_f16 v99, v106, v99, -v107
	ds_load_2addr_b32 v[106:107], v130 offset0:36 offset1:96
	s_waitcnt vmcnt(1)
	v_lshrrev_b32_e32 v108, 16, v101
	v_pack_b32_f16 v99, v99, v109
	s_waitcnt lgkmcnt(0)
	v_lshrrev_b32_e32 v110, 16, v106
	s_delay_alu instid0(VALU_DEP_3) | instskip(NEXT) | instid1(VALU_DEP_2)
	v_mul_f16_e32 v111, v106, v108
	v_mul_f16_e32 v108, v110, v108
	s_delay_alu instid0(VALU_DEP_2) | instskip(NEXT) | instid1(VALU_DEP_2)
	v_fmac_f16_e32 v111, v110, v101
	v_fma_f16 v101, v106, v101, -v108
	s_delay_alu instid0(VALU_DEP_1)
	v_pack_b32_f16 v101, v101, v111
	ds_store_2addr_b32 v90, v99, v101 offset0:104 offset1:164
	s_clause 0x6
	global_load_b32 v90, v95, s[2:3] offset:1968
	global_load_b32 v99, v95, s[2:3] offset:2208
	;; [unrolled: 1-line block ×7, first 2 shown]
	ds_load_2addr_b32 v[108:109], v91 offset0:176 offset1:236
	s_waitcnt lgkmcnt(0)
	v_lshrrev_b32_e32 v111, 16, v109
	s_waitcnt vmcnt(6)
	v_lshrrev_b32_e32 v110, 16, v90
	s_delay_alu instid0(VALU_DEP_1) | instskip(NEXT) | instid1(VALU_DEP_3)
	v_mul_f16_e32 v112, v109, v110
	v_mul_f16_e32 v110, v111, v110
	s_delay_alu instid0(VALU_DEP_2) | instskip(NEXT) | instid1(VALU_DEP_2)
	v_fmac_f16_e32 v112, v111, v90
	v_fma_f16 v90, v109, v90, -v110
	ds_load_2addr_b32 v[109:110], v98 offset0:40 offset1:136
	s_waitcnt vmcnt(5)
	v_lshrrev_b32_e32 v111, 16, v99
	v_pack_b32_f16 v90, v90, v112
	s_waitcnt lgkmcnt(0)
	v_lshrrev_b32_e32 v113, 16, v109
	s_delay_alu instid0(VALU_DEP_3) | instskip(NEXT) | instid1(VALU_DEP_2)
	v_mul_f16_e32 v114, v109, v111
	v_mul_f16_e32 v111, v113, v111
	s_delay_alu instid0(VALU_DEP_2) | instskip(NEXT) | instid1(VALU_DEP_2)
	v_fmac_f16_e32 v114, v113, v99
	v_fma_f16 v99, v109, v99, -v111
	s_delay_alu instid0(VALU_DEP_1)
	v_pack_b32_f16 v99, v99, v114
	ds_store_2addr_b32 v89, v90, v99 offset0:108 offset1:168
	s_clause 0x2
	global_load_b32 v89, v[85:86], off offset:1088
	global_load_b32 v109, v[85:86], off offset:1328
	;; [unrolled: 1-line block ×3, first 2 shown]
	ds_load_2addr_b32 v[111:112], v94 offset0:16 offset1:76
	s_waitcnt lgkmcnt(0)
	v_lshrrev_b32_e32 v113, 16, v111
	s_waitcnt vmcnt(2)
	v_lshrrev_b32_e32 v99, 16, v89
	s_delay_alu instid0(VALU_DEP_1) | instskip(NEXT) | instid1(VALU_DEP_3)
	v_mul_f16_e64 v150, v111, v99
	v_mul_f16_e32 v99, v113, v99
	s_delay_alu instid0(VALU_DEP_2)
	v_fmac_f16_e64 v150, v113, v89
	ds_load_2addr_b32 v[113:114], v93 offset0:116 offset1:176
	v_fma_f16 v89, v111, v89, -v99
	s_waitcnt vmcnt(0)
	v_lshrrev_b32_e32 v99, 16, v90
	global_load_b32 v111, v[85:86], off offset:464
	v_pack_b32_f16 v89, v89, v150
	s_waitcnt lgkmcnt(0)
	v_lshrrev_b32_e32 v151, 16, v114
	v_mul_f16_e64 v200, v114, v99
	s_delay_alu instid0(VALU_DEP_2) | instskip(NEXT) | instid1(VALU_DEP_2)
	v_mul_f16_e64 v99, v151, v99
	v_fmac_f16_e64 v200, v151, v90
	s_delay_alu instid0(VALU_DEP_2) | instskip(NEXT) | instid1(VALU_DEP_1)
	v_fma_f16 v90, v114, v90, -v99
	v_pack_b32_f16 v90, v90, v200
	ds_store_2addr_b32 v96, v90, v89 offset0:48 offset1:144
	v_add_co_u32 v89, s0, 0x2000, v87
	s_delay_alu instid0(VALU_DEP_1)
	v_add_co_ci_u32_e64 v90, s0, 0, v88, s0
	s_clause 0x5
	global_load_b32 v96, v[85:86], off offset:3056
	global_load_b32 v99, v[85:86], off offset:3296
	;; [unrolled: 1-line block ×6, first 2 shown]
	ds_load_2addr_b32 v[150:151], v130 offset0:192 offset1:252
	s_waitcnt lgkmcnt(0)
	v_lshrrev_b32_e32 v201, 16, v151
	s_waitcnt vmcnt(5)
	v_lshrrev_b32_e32 v200, 16, v96
	s_delay_alu instid0(VALU_DEP_1) | instskip(NEXT) | instid1(VALU_DEP_3)
	v_mul_f16_e64 v222, v151, v200
	v_mul_f16_e64 v200, v201, v200
	s_delay_alu instid0(VALU_DEP_2) | instskip(NEXT) | instid1(VALU_DEP_2)
	v_fmac_f16_e64 v222, v201, v96
	v_fma_f16 v96, v151, v96, -v200
	ds_load_2addr_b32 v[200:201], v103 offset0:56 offset1:152
	s_waitcnt vmcnt(4)
	v_lshrrev_b32_e32 v151, 16, v99
	v_pack_b32_f16 v96, v96, v222
	s_waitcnt lgkmcnt(0)
	v_lshrrev_b32_e32 v223, 16, v200
	s_delay_alu instid0(VALU_DEP_3) | instskip(NEXT) | instid1(VALU_DEP_2)
	v_mul_f16_e64 v224, v200, v151
	v_mul_f16_e64 v151, v223, v151
	s_delay_alu instid0(VALU_DEP_2) | instskip(NEXT) | instid1(VALU_DEP_2)
	v_fmac_f16_e64 v224, v223, v99
	v_fma_f16 v99, v200, v99, -v151
	v_add_nc_u32_e32 v151, 0x1a00, v115
	s_delay_alu instid0(VALU_DEP_2)
	v_pack_b32_f16 v99, v99, v224
	ds_store_2addr_b32 v151, v96, v99 offset0:124 offset1:184
	global_load_b32 v96, v95, s[2:3] offset:1728
	v_lshrrev_b32_e32 v99, 16, v108
	s_waitcnt vmcnt(0)
	v_lshrrev_b32_e32 v151, 16, v96
	s_delay_alu instid0(VALU_DEP_1) | instskip(SKIP_1) | instid1(VALU_DEP_2)
	v_mul_f16_e64 v200, v99, v151
	v_mul_f16_e64 v151, v108, v151
	v_fma_f16 v200, v108, v96, -v200
	s_delay_alu instid0(VALU_DEP_2) | instskip(SKIP_2) | instid1(VALU_DEP_2)
	v_fmac_f16_e64 v151, v99, v96
	v_lshrrev_b32_e32 v99, 16, v101
	v_lshrrev_b32_e32 v96, 16, v110
	v_mul_f16_e64 v222, v110, v99
	s_delay_alu instid0(VALU_DEP_2) | instskip(SKIP_1) | instid1(VALU_DEP_3)
	v_mul_f16_e32 v108, v96, v99
	v_lshrrev_b32_e32 v99, 16, v197
	v_fmac_f16_e64 v222, v96, v101
	v_lshrrev_b32_e32 v96, 16, v150
	s_delay_alu instid0(VALU_DEP_4) | instskip(NEXT) | instid1(VALU_DEP_4)
	v_fma_f16 v108, v110, v101, -v108
	v_mul_f16_e64 v110, v150, v99
	s_delay_alu instid0(VALU_DEP_3) | instskip(SKIP_1) | instid1(VALU_DEP_3)
	v_mul_f16_e32 v101, v96, v99
	v_lshrrev_b32_e32 v99, 16, v114
	v_fmac_f16_e64 v110, v96, v197
	v_lshrrev_b32_e32 v96, 16, v201
	s_delay_alu instid0(VALU_DEP_4) | instskip(NEXT) | instid1(VALU_DEP_4)
	v_fma_f16 v150, v150, v197, -v101
	v_mul_f16_e64 v197, v201, v99
	s_delay_alu instid0(VALU_DEP_3) | instskip(SKIP_1) | instid1(VALU_DEP_3)
	v_mul_f16_e32 v101, v96, v99
	v_lshrrev_b32_e32 v99, 16, v146
	v_fmac_f16_e64 v197, v96, v114
	v_lshrrev_b32_e32 v96, 16, v100
	s_delay_alu instid0(VALU_DEP_4) | instskip(NEXT) | instid1(VALU_DEP_4)
	v_fma_f16 v201, v201, v114, -v101
	v_mul_f16_e32 v114, v100, v99
	s_delay_alu instid0(VALU_DEP_3) | instskip(NEXT) | instid1(VALU_DEP_2)
	v_mul_f16_e32 v101, v96, v99
	v_fmac_f16_e64 v114, v96, v146
	v_lshrrev_b32_e32 v96, 16, v106
	s_delay_alu instid0(VALU_DEP_3) | instskip(SKIP_4) | instid1(VALU_DEP_2)
	v_fma_f16 v223, v100, v146, -v101
	ds_load_2addr_b32 v[99:100], v92 offset0:68 offset1:128
	s_waitcnt lgkmcnt(0)
	v_lshrrev_b32_e32 v101, 16, v99
	v_mul_f16_e64 v146, v99, v96
	v_mul_f16_e32 v96, v101, v96
	s_delay_alu instid0(VALU_DEP_2) | instskip(NEXT) | instid1(VALU_DEP_2)
	v_fmac_f16_e64 v146, v101, v106
	v_fma_f16 v96, v99, v106, -v96
	v_pack_b32_f16 v99, v108, v222
	global_load_b32 v108, v[85:86], off offset:224
	v_pack_b32_f16 v96, v96, v146
	ds_store_2addr_b32 v98, v99, v96 offset0:136 offset1:196
	global_load_b32 v99, v95, s[2:3] offset:3456
	ds_load_2addr_b32 v[95:96], v97 offset0:96 offset1:156
	s_waitcnt lgkmcnt(0)
	v_lshrrev_b32_e32 v106, 16, v95
	s_waitcnt vmcnt(0)
	v_lshrrev_b32_e32 v101, 16, v99
	s_delay_alu instid0(VALU_DEP_1) | instskip(NEXT) | instid1(VALU_DEP_3)
	v_mul_f16_e64 v146, v95, v101
	v_mul_f16_e32 v101, v106, v101
	s_delay_alu instid0(VALU_DEP_2) | instskip(NEXT) | instid1(VALU_DEP_2)
	v_fmac_f16_e64 v146, v106, v99
	v_fma_f16 v99, v95, v99, -v101
	v_lshrrev_b32_e32 v95, 16, v96
	v_lshrrev_b32_e32 v101, 16, v204
	s_delay_alu instid0(VALU_DEP_1) | instskip(SKIP_1) | instid1(VALU_DEP_2)
	v_mul_f16_e32 v106, v95, v101
	v_mul_f16_e64 v222, v96, v101
	v_fma_f16 v106, v96, v204, -v106
	s_delay_alu instid0(VALU_DEP_2) | instskip(SKIP_2) | instid1(VALU_DEP_1)
	v_fmac_f16_e64 v222, v95, v204
	v_lshrrev_b32_e32 v95, 16, v113
	v_lshrrev_b32_e32 v96, 16, v111
	v_mul_f16_e32 v101, v95, v96
	v_mul_f16_e64 v204, v113, v96
	s_delay_alu instid0(VALU_DEP_2) | instskip(SKIP_1) | instid1(VALU_DEP_3)
	v_fma_f16 v113, v113, v111, -v101
	v_add_nc_u32_e32 v101, 0xe00, v115
	v_fmac_f16_e64 v204, v95, v111
	v_lshrrev_b32_e32 v111, 16, v108
	ds_load_2addr_b32 v[95:96], v101 offset0:88 offset1:184
	s_waitcnt lgkmcnt(0)
	v_lshrrev_b32_e32 v224, 16, v96
	v_mul_f16_e64 v225, v96, v111
	s_delay_alu instid0(VALU_DEP_2) | instskip(NEXT) | instid1(VALU_DEP_2)
	v_mul_f16_e64 v111, v224, v111
	v_fmac_f16_e64 v225, v224, v108
	s_delay_alu instid0(VALU_DEP_2) | instskip(SKIP_1) | instid1(VALU_DEP_2)
	v_fma_f16 v96, v96, v108, -v111
	v_pack_b32_f16 v108, v113, v204
	v_pack_b32_f16 v96, v96, v225
	ds_store_2addr_b32 v93, v96, v108 offset0:56 offset1:116
	v_lshrrev_b32_e32 v108, 16, v109
	v_lshrrev_b32_e32 v96, 16, v112
	s_delay_alu instid0(VALU_DEP_2) | instskip(NEXT) | instid1(VALU_DEP_2)
	v_mul_f16_e32 v113, v112, v108
	v_mul_f16_e32 v111, v96, v108
	v_lshrrev_b32_e32 v108, 16, v153
	s_delay_alu instid0(VALU_DEP_3) | instskip(SKIP_1) | instid1(VALU_DEP_4)
	v_fmac_f16_e32 v113, v96, v109
	v_lshrrev_b32_e32 v96, 16, v104
	v_fma_f16 v111, v112, v109, -v111
	s_delay_alu instid0(VALU_DEP_4) | instskip(NEXT) | instid1(VALU_DEP_3)
	v_mul_f16_e32 v112, v104, v108
	v_mul_f16_e32 v109, v96, v108
	s_delay_alu instid0(VALU_DEP_2) | instskip(SKIP_1) | instid1(VALU_DEP_3)
	v_fmac_f16_e64 v112, v96, v153
	v_lshrrev_b32_e32 v96, 16, v219
	v_fma_f16 v104, v104, v153, -v109
	ds_load_2addr_b32 v[108:109], v131 offset0:84 offset1:144
	v_pack_b32_f16 v104, v104, v112
	s_waitcnt lgkmcnt(0)
	v_lshrrev_b32_e32 v153, 16, v108
	v_mul_f16_e64 v204, v108, v96
	s_delay_alu instid0(VALU_DEP_2) | instskip(NEXT) | instid1(VALU_DEP_2)
	v_mul_f16_e64 v96, v153, v96
	v_fmac_f16_e64 v204, v153, v219
	s_delay_alu instid0(VALU_DEP_2) | instskip(SKIP_1) | instid1(VALU_DEP_2)
	v_fma_f16 v96, v108, v219, -v96
	v_pack_b32_f16 v108, v201, v197
	v_pack_b32_f16 v96, v96, v204
	ds_store_2addr_b32 v103, v108, v96 offset0:152 offset1:212
	v_pack_b32_f16 v96, v223, v114
	ds_store_2addr_b32 v115, v96, v104 offset0:60 offset1:120
	v_lshrrev_b32_e32 v96, 16, v102
	v_lshrrev_b32_e32 v104, 16, v148
	s_delay_alu instid0(VALU_DEP_1) | instskip(SKIP_1) | instid1(VALU_DEP_2)
	v_mul_f16_e32 v108, v96, v104
	v_mul_f16_e32 v104, v102, v104
	v_fma_f16 v102, v102, v148, -v108
	s_delay_alu instid0(VALU_DEP_2) | instskip(SKIP_2) | instid1(VALU_DEP_3)
	v_fmac_f16_e64 v104, v96, v148
	v_lshrrev_b32_e32 v96, 16, v100
	v_lshrrev_b32_e32 v108, 16, v218
	v_pack_b32_f16 v102, v102, v104
	s_delay_alu instid0(VALU_DEP_2) | instskip(SKIP_1) | instid1(VALU_DEP_2)
	v_mul_f16_e32 v112, v96, v108
	v_mul_f16_e32 v108, v100, v108
	v_fma_f16 v100, v100, v218, -v112
	s_delay_alu instid0(VALU_DEP_2)
	v_fmac_f16_e64 v108, v96, v218
	v_pack_b32_f16 v96, v200, v151
	ds_store_2addr_b32 v91, v102, v96 offset0:80 offset1:176
	v_pack_b32_f16 v96, v99, v146
	v_pack_b32_f16 v99, v100, v108
	ds_store_2addr_b32 v97, v99, v96 offset1:96
	v_lshrrev_b32_e32 v96, 16, v95
	v_lshrrev_b32_e32 v99, 16, v217
	s_delay_alu instid0(VALU_DEP_1) | instskip(SKIP_1) | instid1(VALU_DEP_2)
	v_mul_f16_e32 v100, v96, v99
	v_mul_f16_e32 v99, v95, v99
	v_fma_f16 v95, v95, v217, -v100
	s_delay_alu instid0(VALU_DEP_2) | instskip(SKIP_2) | instid1(VALU_DEP_3)
	v_fmac_f16_e64 v99, v96, v217
	v_lshrrev_b32_e32 v96, 16, v105
	v_lshrrev_b32_e32 v100, 16, v203
	v_pack_b32_f16 v95, v95, v99
	s_delay_alu instid0(VALU_DEP_2) | instskip(SKIP_1) | instid1(VALU_DEP_2)
	v_mul_f16_e32 v102, v96, v100
	v_mul_f16_e32 v100, v105, v100
	v_fma_f16 v102, v105, v203, -v102
	s_delay_alu instid0(VALU_DEP_2)
	v_fmac_f16_e64 v100, v96, v203
	v_pack_b32_f16 v96, v106, v222
	ds_store_2addr_b32 v97, v96, v95 offset0:156 offset1:216
	v_pack_b32_f16 v95, v111, v113
	v_pack_b32_f16 v96, v102, v100
	v_lshrrev_b32_e32 v100, 16, v220
	ds_store_2addr_b32 v94, v95, v96 offset0:76 offset1:136
	v_lshrrev_b32_e32 v95, 16, v107
	v_lshrrev_b32_e32 v96, 16, v221
	s_delay_alu instid0(VALU_DEP_1) | instskip(SKIP_1) | instid1(VALU_DEP_2)
	v_mul_f16_e32 v99, v95, v96
	v_mul_f16_e32 v96, v107, v96
	v_fma_f16 v99, v107, v221, -v99
	s_delay_alu instid0(VALU_DEP_2) | instskip(SKIP_1) | instid1(VALU_DEP_2)
	v_fmac_f16_e64 v96, v95, v221
	v_lshrrev_b32_e32 v95, 16, v109
	v_pack_b32_f16 v96, v99, v96
	s_delay_alu instid0(VALU_DEP_2) | instskip(SKIP_1) | instid1(VALU_DEP_2)
	v_mul_f16_e32 v102, v95, v100
	v_mul_f16_e32 v100, v109, v100
	v_fma_f16 v102, v109, v220, -v102
	s_delay_alu instid0(VALU_DEP_2)
	v_fmac_f16_e64 v100, v95, v220
	v_pack_b32_f16 v95, v150, v110
	ds_store_2addr_b32 v130, v96, v95 offset0:96 offset1:192
	v_pack_b32_f16 v95, v102, v100
	ds_store_b32 v115, v95 offset:8256
	s_and_saveexec_b32 s0, vcc_lo
	s_cbranch_execz .LBB0_9
; %bb.8:
	s_clause 0x9
	global_load_b32 v95, v[87:88], off offset:720
	global_load_b32 v96, v[87:88], off offset:1584
	;; [unrolled: 1-line block ×10, first 2 shown]
	v_add_nc_u32_e32 v90, 0x280, v115
	ds_load_2addr_b32 v[85:86], v90 offset0:20 offset1:236
	s_waitcnt lgkmcnt(0)
	v_lshrrev_b32_e32 v106, 16, v85
	v_lshrrev_b32_e32 v108, 16, v86
	s_waitcnt vmcnt(9)
	v_lshrrev_b32_e32 v107, 16, v95
	s_waitcnt vmcnt(8)
	v_lshrrev_b32_e32 v109, 16, v96
	s_delay_alu instid0(VALU_DEP_2) | instskip(SKIP_1) | instid1(VALU_DEP_3)
	v_mul_f16_e32 v110, v106, v107
	v_mul_f16_e32 v107, v85, v107
	;; [unrolled: 1-line block ×4, first 2 shown]
	s_delay_alu instid0(VALU_DEP_4) | instskip(NEXT) | instid1(VALU_DEP_4)
	v_fma_f16 v85, v85, v95, -v110
	v_fmac_f16_e32 v107, v106, v95
	s_delay_alu instid0(VALU_DEP_4) | instskip(NEXT) | instid1(VALU_DEP_4)
	v_fma_f16 v86, v86, v96, -v111
	v_fmac_f16_e32 v109, v108, v96
	v_add_nc_u32_e32 v95, 0x900, v115
	s_waitcnt vmcnt(6)
	v_lshrrev_b32_e32 v96, 16, v87
	v_pack_b32_f16 v85, v85, v107
	v_pack_b32_f16 v86, v86, v109
	ds_store_2addr_b32 v90, v85, v86 offset0:20 offset1:236
	ds_load_2addr_b32 v[85:86], v95 offset0:36 offset1:252
	v_lshrrev_b32_e32 v90, 16, v99
	s_waitcnt lgkmcnt(0)
	v_lshrrev_b32_e32 v106, 16, v85
	v_lshrrev_b32_e32 v107, 16, v86
	s_delay_alu instid0(VALU_DEP_3) | instskip(SKIP_1) | instid1(VALU_DEP_4)
	v_mul_f16_e32 v108, v85, v90
	v_mul_f16_e32 v109, v86, v96
	;; [unrolled: 1-line block ×3, first 2 shown]
	s_delay_alu instid0(VALU_DEP_4) | instskip(NEXT) | instid1(VALU_DEP_4)
	v_mul_f16_e32 v96, v107, v96
	v_fmac_f16_e32 v108, v106, v99
	s_delay_alu instid0(VALU_DEP_4) | instskip(NEXT) | instid1(VALU_DEP_4)
	v_fmac_f16_e32 v109, v107, v87
	v_fma_f16 v85, v85, v99, -v90
	s_delay_alu instid0(VALU_DEP_4)
	v_fma_f16 v86, v86, v87, -v96
	s_waitcnt vmcnt(5)
	v_lshrrev_b32_e32 v87, 16, v88
	s_waitcnt vmcnt(4)
	v_lshrrev_b32_e32 v90, 16, v100
	v_pack_b32_f16 v85, v85, v108
	v_pack_b32_f16 v86, v86, v109
	ds_store_2addr_b32 v95, v85, v86 offset0:36 offset1:252
	ds_load_2addr_b32 v[85:86], v93 offset0:20 offset1:236
	s_waitcnt lgkmcnt(0)
	v_lshrrev_b32_e32 v95, 16, v85
	v_lshrrev_b32_e32 v96, 16, v86
	v_mul_f16_e32 v99, v85, v87
	v_mul_f16_e32 v106, v86, v90
	s_delay_alu instid0(VALU_DEP_4) | instskip(NEXT) | instid1(VALU_DEP_4)
	v_mul_f16_e32 v87, v95, v87
	v_mul_f16_e32 v90, v96, v90
	s_delay_alu instid0(VALU_DEP_4) | instskip(NEXT) | instid1(VALU_DEP_4)
	v_fmac_f16_e32 v99, v95, v88
	v_fmac_f16_e32 v106, v96, v100
	v_add_nc_u32_e32 v95, 0x1d80, v115
	v_fma_f16 v85, v85, v88, -v87
	v_fma_f16 v86, v86, v100, -v90
	v_add_nc_u32_e32 v90, 0x1700, v115
	s_waitcnt vmcnt(3)
	v_lshrrev_b32_e32 v96, 16, v102
	s_waitcnt vmcnt(1)
	v_lshrrev_b32_e32 v100, 16, v105
	v_pack_b32_f16 v85, v85, v99
	v_pack_b32_f16 v86, v86, v106
	v_lshrrev_b32_e32 v99, 16, v104
	s_waitcnt vmcnt(0)
	v_lshrrev_b32_e32 v106, 16, v89
	ds_store_2addr_b32 v93, v85, v86 offset0:20 offset1:236
	ds_load_2addr_b32 v[85:86], v90 offset0:4 offset1:220
	ds_load_2addr_b32 v[87:88], v95 offset0:20 offset1:236
	s_waitcnt lgkmcnt(1)
	v_lshrrev_b32_e32 v107, 16, v85
	v_lshrrev_b32_e32 v109, 16, v86
	s_waitcnt lgkmcnt(0)
	v_lshrrev_b32_e32 v111, 16, v87
	v_lshrrev_b32_e32 v113, 16, v88
	v_mul_f16_e32 v108, v85, v96
	v_mul_f16_e32 v110, v86, v99
	;; [unrolled: 1-line block ×8, first 2 shown]
	v_fmac_f16_e32 v108, v107, v102
	v_fmac_f16_e32 v110, v109, v104
	v_fma_f16 v85, v85, v102, -v96
	v_fma_f16 v86, v86, v104, -v99
	v_fmac_f16_e32 v112, v111, v105
	v_fmac_f16_e32 v114, v113, v89
	v_fma_f16 v87, v87, v105, -v100
	v_fma_f16 v88, v88, v89, -v106
	v_pack_b32_f16 v85, v85, v108
	v_pack_b32_f16 v86, v86, v110
	s_delay_alu instid0(VALU_DEP_4) | instskip(NEXT) | instid1(VALU_DEP_4)
	v_pack_b32_f16 v87, v87, v112
	v_pack_b32_f16 v88, v88, v114
	ds_store_2addr_b32 v90, v85, v86 offset0:4 offset1:220
	ds_store_2addr_b32 v95, v87, v88 offset0:20 offset1:236
.LBB0_9:
	s_or_b32 exec_lo, exec_lo, s0
	s_waitcnt lgkmcnt(0)
	s_barrier
	buffer_gl0_inv
	ds_load_2addr_b32 v[105:106], v115 offset1:60
	ds_load_2addr_b32 v[95:96], v115 offset0:120 offset1:216
	ds_load_2addr_b32 v[107:108], v91 offset0:176 offset1:236
	;; [unrolled: 1-line block ×14, first 2 shown]
	s_and_saveexec_b32 s0, vcc_lo
	s_cbranch_execz .LBB0_11
; %bb.10:
	v_add_nc_u32_e32 v75, 0x280, v115
	v_add_nc_u32_e32 v76, 0x900, v115
	;; [unrolled: 1-line block ×3, first 2 shown]
	ds_load_2addr_b32 v[81:82], v75 offset0:20 offset1:236
	v_add_nc_u32_e32 v75, 0x1700, v115
	ds_load_2addr_b32 v[83:84], v76 offset0:36 offset1:252
	v_add_nc_u32_e32 v76, 0x1d80, v115
	ds_load_2addr_b32 v[79:80], v77 offset0:20 offset1:236
	ds_load_2addr_b32 v[77:78], v75 offset0:4 offset1:220
	;; [unrolled: 1-line block ×3, first 2 shown]
	s_waitcnt lgkmcnt(4)
	v_lshrrev_b32_e32 v138, 16, v81
	v_lshrrev_b32_e32 v142, 16, v82
	s_waitcnt lgkmcnt(3)
	v_lshrrev_b32_e32 v133, 16, v83
	v_lshrrev_b32_e32 v144, 16, v84
	;; [unrolled: 3-line block ×5, first 2 shown]
.LBB0_11:
	s_or_b32 exec_lo, exec_lo, s0
	s_waitcnt lgkmcnt(10)
	v_lshrrev_b32_e32 v153, 16, v111
	s_waitcnt lgkmcnt(8)
	v_lshrrev_b32_e32 v197, 16, v113
	s_waitcnt lgkmcnt(6)
	v_add_f16_e64 v131, v107, v109
	v_sub_f16_e64 v146, v113, v109
	v_lshrrev_b32_e32 v203, 16, v107
	v_lshrrev_b32_e32 v204, 16, v109
	v_sub_f16_e64 v150, v111, v107
	v_lshrrev_b32_e32 v130, 16, v105
	v_add_f16_e64 v151, v153, v197
	v_fma_f16 v131, -0.5, v131, v105
	v_sub_f16_e64 v148, v153, v197
	v_add_f16_e64 v201, v150, v146
	v_sub_f16_e64 v150, v203, v204
	v_fma_f16 v146, -0.5, v151, v130
	v_add_f16_e64 v200, v203, v204
	v_fma_f16 v151, 0x3b9c, v148, v131
	v_fmac_f16_e64 v131, 0xbb9c, v148
	v_sub_f16_e64 v219, v98, v100
	v_lshrrev_b32_e32 v225, 16, v98
	v_fmac_f16_e64 v130, -0.5, v200
	v_fmac_f16_e64 v151, 0xb8b4, v150
	v_fmac_f16_e64 v131, 0x38b4, v150
	v_sub_f16_e64 v200, v153, v203
	v_lshrrev_b32_e32 v226, 16, v102
	v_lshrrev_b32_e32 v229, 16, v100
	v_fmac_f16_e64 v151, 0x34f2, v201
	v_fmac_f16_e64 v131, 0x34f2, v201
	v_sub_f16_e64 v201, v197, v204
	s_waitcnt lgkmcnt(5)
	v_lshrrev_b32_e32 v230, 16, v104
	v_lshrrev_b32_e32 v224, 16, v96
	v_sub_f16_e64 v153, v203, v153
	v_sub_f16_e64 v197, v204, v197
	v_add_f16_e64 v218, v200, v201
	v_sub_f16_e64 v200, v111, v113
	v_sub_f16_e64 v201, v107, v109
	;; [unrolled: 1-line block ×5, first 2 shown]
	v_fma_f16 v217, 0xbb9c, v200, v130
	v_fmac_f16_e64 v130, 0x3b9c, v200
	v_sub_f16_e64 v204, v107, v111
	v_add_f16_e64 v153, v153, v197
	v_sub_f16_e64 v197, v229, v225
	v_fmac_f16_e64 v217, 0x38b4, v201
	v_fmac_f16_e64 v130, 0xb8b4, v201
	s_waitcnt lgkmcnt(0)
	s_barrier
	buffer_gl0_inv
	v_fmac_f16_e64 v217, 0x34f2, v218
	v_fmac_f16_e64 v130, 0x34f2, v218
	v_sub_f16_e64 v218, v102, v104
	s_delay_alu instid0(VALU_DEP_1) | instskip(SKIP_2) | instid1(VALU_DEP_2)
	v_add_f16_e64 v220, v219, v218
	v_add_f16_e64 v218, v225, v226
	;; [unrolled: 1-line block ×3, first 2 shown]
	v_fma_f16 v218, -0.5, v218, v224
	s_delay_alu instid0(VALU_DEP_2) | instskip(SKIP_1) | instid1(VALU_DEP_1)
	v_fmac_f16_e64 v224, -0.5, v219
	v_sub_f16_e64 v219, v225, v229
	v_add_f16_e64 v222, v219, v221
	v_sub_f16_e64 v219, v98, v102
	v_sub_f16_e64 v221, v100, v104
	s_delay_alu instid0(VALU_DEP_2) | instskip(SKIP_1) | instid1(VALU_DEP_2)
	v_fma_f16 v233, 0xbb9c, v219, v224
	v_fmac_f16_e64 v224, 0x3b9c, v219
	v_fmac_f16_e64 v233, 0x38b4, v221
	s_delay_alu instid0(VALU_DEP_2) | instskip(NEXT) | instid1(VALU_DEP_2)
	v_fmac_f16_e64 v224, 0xb8b4, v221
	v_fmac_f16_e64 v233, 0x34f2, v222
	s_delay_alu instid0(VALU_DEP_2) | instskip(SKIP_1) | instid1(VALU_DEP_1)
	v_fmac_f16_e64 v224, 0x34f2, v222
	v_add_f16_e64 v222, v100, v104
	v_fma_f16 v232, -0.5, v222, v96
	v_sub_f16_e64 v222, v225, v226
	v_sub_f16_e64 v225, v100, v98
	s_delay_alu instid0(VALU_DEP_2) | instskip(SKIP_1) | instid1(VALU_DEP_2)
	v_fma_f16 v234, 0x3b9c, v222, v232
	v_fmac_f16_e64 v232, 0xbb9c, v222
	v_fmac_f16_e64 v234, 0xb8b4, v223
	s_delay_alu instid0(VALU_DEP_2) | instskip(NEXT) | instid1(VALU_DEP_2)
	v_fmac_f16_e64 v232, 0x38b4, v223
	v_fmac_f16_e64 v234, 0x34f2, v220
	s_delay_alu instid0(VALU_DEP_2) | instskip(SKIP_2) | instid1(VALU_DEP_2)
	v_fmac_f16_e64 v232, 0x34f2, v220
	v_mul_f16_e64 v220, 0xbb9c, v224
	v_mul_f16_e64 v224, 0xb4f2, v224
	v_fmac_f16_e64 v220, 0xb4f2, v232
	s_delay_alu instid0(VALU_DEP_2) | instskip(SKIP_2) | instid1(VALU_DEP_3)
	v_fmac_f16_e64 v224, 0x3b9c, v232
	v_mul_f16_e64 v232, 0xbb9c, v233
	v_mul_f16_e64 v233, 0x34f2, v233
	v_add_f16_e64 v235, v130, v224
	s_delay_alu instid0(VALU_DEP_3) | instskip(NEXT) | instid1(VALU_DEP_3)
	v_fmac_f16_e64 v232, 0x34f2, v234
	v_fmac_f16_e64 v233, 0x3b9c, v234
	v_add_f16_e64 v234, v131, v220
	s_delay_alu instid0(VALU_DEP_2) | instskip(NEXT) | instid1(VALU_DEP_2)
	v_add_f16_e64 v236, v217, v233
	v_pack_b32_f16 v235, v234, v235
	v_add_f16_e64 v234, v151, v232
	v_sub_f16_e64 v151, v151, v232
	s_delay_alu instid0(VALU_DEP_2) | instskip(SKIP_3) | instid1(VALU_DEP_2)
	v_pack_b32_f16 v234, v234, v236
	v_add_f16_e64 v236, v204, v203
	v_sub_f16_e64 v203, v230, v226
	v_sub_f16_e64 v204, v104, v102
	v_add_f16_e64 v197, v197, v203
	v_add_f16_e64 v203, v98, v102
	s_delay_alu instid0(VALU_DEP_3) | instskip(NEXT) | instid1(VALU_DEP_2)
	v_add_f16_e64 v225, v225, v204
	v_fma_f16 v226, -0.5, v203, v96
	v_fma_f16 v203, 0x3b9c, v221, v218
	v_fmac_f16_e64 v218, 0xbb9c, v221
	v_pk_add_f16 v96, v96, v100
	s_delay_alu instid0(VALU_DEP_4) | instskip(NEXT) | instid1(VALU_DEP_4)
	v_fma_f16 v204, 0xbb9c, v223, v226
	v_fmac_f16_e64 v203, 0x38b4, v219
	v_fmac_f16_e64 v226, 0x3b9c, v223
	;; [unrolled: 1-line block ×3, first 2 shown]
	v_pk_add_f16 v96, v96, v98
	v_fmac_f16_e64 v204, 0xb8b4, v222
	v_fmac_f16_e64 v203, 0x34f2, v197
	;; [unrolled: 1-line block ×4, first 2 shown]
	v_pk_add_f16 v96, v96, v102
	v_fmac_f16_e64 v204, 0x34f2, v225
	v_mul_f16_e64 v229, 0xb8b4, v203
	v_fmac_f16_e64 v226, 0x34f2, v225
	v_mul_f16_e64 v197, 0xba79, v218
	v_pk_add_f16 v96, v96, v104
	v_mul_f16_e64 v230, 0x38b4, v204
	v_fmac_f16_e64 v229, 0x3a79, v204
	v_add_f16_e64 v204, v111, v113
	v_fmac_f16_e64 v197, 0x38b4, v226
	v_sub_f16_e64 v102, v130, v224
	v_fmac_f16_e64 v230, 0x3a79, v203
	v_sub_f16_e64 v203, v217, v233
	v_fma_f16 v217, -0.5, v204, v105
	v_fma_f16 v233, 0x3b9c, v201, v146
	v_fmac_f16_e64 v146, 0xbb9c, v201
	v_pk_add_f16 v105, v105, v107
	v_pack_b32_f16 v204, v151, v203
	v_fma_f16 v232, 0xbb9c, v150, v217
	v_fmac_f16_e64 v233, 0x38b4, v200
	v_fmac_f16_e64 v217, 0x3b9c, v150
	;; [unrolled: 1-line block ×3, first 2 shown]
	v_pk_add_f16 v105, v105, v111
	v_fmac_f16_e64 v232, 0xb8b4, v148
	v_fmac_f16_e64 v233, 0x34f2, v153
	;; [unrolled: 1-line block ×4, first 2 shown]
	v_mul_f16_e64 v153, 0xb8b4, v218
	v_fmac_f16_e64 v232, 0x34f2, v236
	v_pk_add_f16 v98, v105, v113
	v_sub_f16_e64 v203, v233, v230
	v_fmac_f16_e64 v217, 0x34f2, v236
	v_fmac_f16_e64 v153, 0xba79, v226
	v_sub_f16_e64 v151, v232, v229
	v_pk_add_f16 v98, v98, v109
	v_add_f16_e64 v150, v232, v229
	v_add_f16_e64 v148, v233, v230
	v_sub_f16_e64 v100, v146, v197
	v_pack_b32_f16 v203, v151, v203
	v_pk_add_f16 v104, v98, v96
	v_pk_add_f16 v151, v98, v96 neg_lo:[0,1] neg_hi:[0,1]
	v_add_f16_e64 v96, v217, v153
	v_add_f16_e64 v98, v146, v197
	v_pack_b32_f16 v105, v150, v148
	v_sub_f16_e32 v107, v112, v114
	v_lshrrev_b32_e32 v109, 16, v112
	v_sub_f16_e32 v111, v108, v112
	v_pack_b32_f16 v150, v96, v98
	v_sub_f16_e64 v96, v131, v220
	v_sub_f16_e64 v98, v217, v153
	ds_store_2addr_b64 v210, v[104:105], v[234:235] offset1:1
	ds_store_2addr_b64 v210, v[150:151], v[203:204] offset0:2 offset1:3
	v_sub_f16_e32 v104, v114, v110
	v_pack_b32_f16 v130, v96, v102
	v_pk_add_f16 v96, v106, v108
	v_pack_b32_f16 v131, v98, v100
	v_add_f16_e32 v98, v112, v114
	v_lshrrev_b32_e32 v100, 16, v114
	v_sub_f16_e32 v102, v110, v114
	v_pk_add_f16 v96, v96, v112
	v_sub_f16_e32 v105, v112, v108
	v_add_f16_e32 v112, v108, v110
	v_lshrrev_b32_e32 v113, 16, v108
	v_sub_f16_e32 v108, v108, v110
	v_pk_add_f16 v96, v96, v114
	ds_store_b64 v210, v[130:131] offset:32
	v_fma_f16 v112, -0.5, v112, v106
	v_sub_f16_e32 v114, v109, v100
	v_fma_f16 v98, -0.5, v98, v106
	v_pk_add_f16 v96, v96, v110
	v_lshrrev_b32_e32 v110, 16, v110
	v_lshrrev_b32_e32 v106, 16, v106
	v_add_f16_e64 v130, v109, v100
	v_fma_f16 v146, 0x3b9c, v114, v112
	v_fmac_f16_e32 v112, 0xbb9c, v114
	v_add_f16_e64 v131, v113, v110
	v_sub_f16_e64 v148, v113, v110
	v_fma_f16 v130, -0.5, v130, v106
	v_add_f16_e32 v104, v105, v104
	v_sub_f16_e32 v105, v109, v113
	v_fmac_f16_e64 v106, -0.5, v131
	v_fmac_f16_e64 v146, 0xb8b4, v148
	v_fmac_f16_e64 v112, 0x38b4, v148
	v_sub_f16_e64 v131, v100, v110
	v_lshrrev_b32_e32 v151, 16, v87
	v_fma_f16 v150, 0xbb9c, v107, v106
	v_fmac_f16_e32 v106, 0x3b9c, v107
	v_fmac_f16_e64 v146, 0x34f2, v104
	v_fmac_f16_e32 v112, 0x34f2, v104
	v_add_f16_e64 v104, v105, v131
	v_fmac_f16_e64 v150, 0x38b4, v108
	v_fmac_f16_e32 v106, 0xb8b4, v108
	v_sub_f16_e32 v105, v89, v93
	v_sub_f16_e64 v131, v87, v91
	v_lshrrev_b32_e32 v153, 16, v89
	v_fmac_f16_e64 v150, 0x34f2, v104
	v_fmac_f16_e32 v106, 0x34f2, v104
	v_lshrrev_b32_e32 v200, 16, v91
	v_add_f16_e64 v104, v131, v105
	v_add_f16_e64 v105, v151, v153
	v_lshrrev_b32_e32 v131, 16, v85
	v_lshrrev_b32_e32 v201, 16, v93
	v_add_f16_e32 v102, v111, v102
	v_fma_f16 v111, 0xbb9c, v148, v98
	v_fmac_f16_e64 v98, 0x3b9c, v148
	v_fma_f16 v197, -0.5, v105, v131
	v_add_f16_e64 v105, v200, v201
	v_sub_f16_e64 v203, v153, v201
	v_sub_f16_e64 v210, v91, v93
	v_sub_f16_e32 v100, v110, v100
	v_fma_f16 v110, 0x3b9c, v108, v130
	v_fmac_f16_e64 v131, -0.5, v105
	v_sub_f16_e64 v105, v151, v200
	v_fmac_f16_e64 v130, 0xbb9c, v108
	v_fmac_f16_e32 v111, 0xb8b4, v114
	v_fmac_f16_e32 v98, 0x38b4, v114
	v_sub_f16_e32 v109, v113, v109
	v_add_f16_e64 v105, v105, v203
	v_sub_f16_e64 v203, v87, v89
	v_fmac_f16_e32 v110, 0x38b4, v107
	v_fmac_f16_e64 v130, 0xb8b4, v107
	v_fmac_f16_e32 v111, 0x34f2, v102
	v_fmac_f16_e32 v98, 0x34f2, v102
	v_fma_f16 v204, 0xbb9c, v203, v131
	v_fmac_f16_e64 v131, 0x3b9c, v203
	v_sub_f16_e32 v102, v93, v89
	v_sub_f16_e32 v107, v91, v87
	v_add_f16_e32 v113, v87, v89
	v_fmac_f16_e64 v204, 0x38b4, v210
	v_fmac_f16_e64 v131, 0xb8b4, v210
	v_sub_f16_e64 v219, v200, v201
	v_add_f16_e32 v100, v109, v100
	v_add_f16_e32 v102, v107, v102
	v_fmac_f16_e64 v204, 0x34f2, v105
	v_fmac_f16_e64 v131, 0x34f2, v105
	v_add_f16_e32 v105, v91, v93
	v_sub_f16_e64 v107, v200, v151
	v_sub_f16_e64 v108, v201, v153
	v_fma_f16 v109, 0x3b9c, v210, v197
	v_fma_f16 v113, -0.5, v113, v85
	v_fma_f16 v105, -0.5, v105, v85
	v_sub_f16_e64 v217, v151, v153
	v_fmac_f16_e64 v197, 0xbb9c, v210
	v_add_f16_e32 v107, v107, v108
	v_fma_f16 v114, 0xbb9c, v219, v113
	v_fmac_f16_e64 v109, 0x38b4, v203
	v_fma_f16 v218, 0x3b9c, v217, v105
	v_fmac_f16_e64 v105, 0xbb9c, v217
	v_fmac_f16_e64 v113, 0x3b9c, v219
	;; [unrolled: 1-line block ×4, first 2 shown]
	v_fmac_f16_e32 v109, 0x34f2, v107
	v_fmac_f16_e64 v105, 0x38b4, v219
	v_fmac_f16_e64 v113, 0x38b4, v217
	v_fmac_f16_e64 v197, 0x34f2, v107
	v_fmac_f16_e32 v114, 0x34f2, v102
	v_mul_f16_e32 v107, 0xb8b4, v109
	v_fmac_f16_e64 v218, 0xb8b4, v219
	v_fmac_f16_e32 v105, 0x34f2, v104
	v_mul_f16_e64 v220, 0xbb9c, v131
	v_mul_f16_e64 v131, 0xb4f2, v131
	v_fmac_f16_e32 v110, 0x34f2, v100
	v_fmac_f16_e64 v130, 0x34f2, v100
	v_fmac_f16_e32 v113, 0x34f2, v102
	v_fmac_f16_e32 v107, 0x3a79, v114
	v_mul_f16_e32 v100, 0x38b4, v114
	v_mul_f16_e64 v102, 0xb8b4, v197
	v_pk_add_f16 v114, v95, v99
	v_fmac_f16_e64 v218, 0x34f2, v104
	v_fmac_f16_e64 v220, 0xb4f2, v105
	;; [unrolled: 1-line block ×3, first 2 shown]
	v_mul_f16_e64 v221, 0xbb9c, v204
	v_fmac_f16_e32 v100, 0x3a79, v109
	v_fmac_f16_e32 v102, 0xba79, v113
	v_pk_add_f16 v109, v114, v97
	v_add_f16_e64 v104, v112, v220
	v_fmac_f16_e64 v221, 0x34f2, v218
	v_add_f16_e64 v105, v106, v131
	v_mul_f16_e64 v108, 0xba79, v197
	v_pk_add_f16 v109, v109, v101
	v_add_f16_e32 v114, v98, v102
	v_sub_f16_e32 v98, v98, v102
	v_add_f16_e32 v102, v110, v100
	v_sub_f16_e32 v100, v110, v100
	v_lshrrev_b32_e32 v110, 16, v103
	v_lshrrev_b32_e32 v153, 16, v99
	v_add_f16_e64 v200, v97, v101
	v_pack_b32_f16 v105, v104, v105
	v_add_f16_e64 v104, v146, v221
	v_fmac_f16_e32 v108, 0x38b4, v113
	v_add_f16_e32 v113, v111, v107
	v_sub_f16_e32 v107, v111, v107
	v_sub_f16_e64 v111, v146, v221
	v_pk_add_f16 v109, v109, v103
	v_add_f16_e64 v146, v99, v103
	v_sub_f16_e64 v148, v103, v101
	v_sub_f16_e64 v151, v101, v103
	v_sub_f16_e32 v103, v99, v103
	v_sub_f16_e64 v197, v99, v97
	v_sub_f16_e32 v99, v97, v99
	v_lshrrev_b32_e32 v201, 16, v97
	v_sub_f16_e32 v97, v97, v101
	v_lshrrev_b32_e32 v101, 16, v101
	v_fma_f16 v200, -0.5, v200, v95
	v_sub_f16_e64 v203, v153, v110
	v_sub_f16_e64 v106, v106, v131
	v_add_f16_e64 v131, v130, v108
	v_sub_f16_e64 v108, v130, v108
	v_add_f16_e64 v130, v197, v148
	v_fma_f16 v148, 0xbb9c, v203, v200
	v_sub_f16_e64 v197, v201, v101
	v_fmac_f16_e64 v200, 0x3b9c, v203
	v_mul_f16_e64 v204, 0x34f2, v204
	v_fma_f16 v146, -0.5, v146, v95
	v_lshrrev_b32_e32 v95, 16, v95
	v_fmac_f16_e64 v148, 0xb8b4, v197
	v_fmac_f16_e64 v200, 0x38b4, v197
	;; [unrolled: 1-line block ×3, first 2 shown]
	v_add_f16_e64 v99, v99, v151
	v_add_f16_e64 v151, v153, v110
	v_fmac_f16_e64 v148, 0x34f2, v130
	v_fmac_f16_e64 v200, 0x34f2, v130
	v_add_f16_e64 v130, v201, v101
	v_add_f16_e64 v218, v150, v204
	v_sub_f16_e64 v150, v150, v204
	v_fma_f16 v204, 0x3b9c, v197, v146
	v_fmac_f16_e64 v146, 0xbb9c, v197
	v_fma_f16 v130, -0.5, v130, v95
	v_pk_add_f16 v85, v85, v91
	v_pk_add_f16 v91, v86, v92
	v_fmac_f16_e64 v204, 0xb8b4, v203
	v_fmac_f16_e64 v146, 0x38b4, v203
	v_sub_f16_e64 v197, v153, v201
	v_sub_f16_e64 v203, v110, v101
	v_fmac_f16_e64 v95, -0.5, v151
	v_sub_f16_e64 v151, v201, v153
	v_fma_f16 v153, 0x3b9c, v103, v130
	v_fmac_f16_e64 v130, 0xbb9c, v103
	v_pk_add_f16 v85, v85, v87
	v_pk_add_f16 v87, v91, v88
	v_fmac_f16_e64 v204, 0x34f2, v99
	v_fmac_f16_e64 v146, 0x34f2, v99
	v_add_f16_e64 v99, v197, v203
	v_sub_f16_e32 v101, v101, v110
	v_fmac_f16_e64 v153, 0x38b4, v97
	v_fmac_f16_e64 v130, 0xb8b4, v97
	v_fmamk_f16 v110, v97, 0xbb9c, v95
	v_fmac_f16_e32 v95, 0x3b9c, v97
	v_pk_add_f16 v85, v85, v89
	v_pk_add_f16 v87, v87, v90
	v_fmac_f16_e64 v153, 0x34f2, v99
	v_fmac_f16_e64 v130, 0x34f2, v99
	v_add_f16_e64 v89, v151, v101
	v_fmac_f16_e32 v110, 0x38b4, v103
	v_fmac_f16_e32 v95, 0xb8b4, v103
	v_pk_add_f16 v91, v85, v93
	v_pk_add_f16 v97, v87, v94
	v_lshrrev_b32_e32 v85, 16, v94
	v_sub_f16_e32 v87, v94, v90
	v_add_f16_e32 v93, v92, v94
	v_sub_f16_e32 v99, v90, v94
	v_sub_f16_e32 v94, v92, v94
	v_lshrrev_b32_e32 v101, 16, v92
	v_sub_f16_e32 v103, v92, v88
	v_sub_f16_e32 v92, v88, v92
	v_add_f16_e64 v151, v88, v90
	v_lshrrev_b32_e32 v197, 16, v88
	v_sub_f16_e32 v88, v88, v90
	v_lshrrev_b32_e32 v90, 16, v90
	v_fmac_f16_e32 v110, 0x34f2, v89
	v_fmac_f16_e32 v95, 0x34f2, v89
	v_fma_f16 v89, -0.5, v151, v86
	v_fma_f16 v93, -0.5, v93, v86
	v_lshrrev_b32_e32 v86, 16, v86
	v_add_f16_e64 v151, v197, v90
	v_add_f16_e64 v203, v101, v85
	v_add_f16_e32 v87, v103, v87
	v_sub_f16_e64 v103, v197, v90
	v_sub_f16_e64 v201, v101, v197
	;; [unrolled: 1-line block ×3, first 2 shown]
	v_sub_f16_e32 v101, v101, v85
	v_sub_f16_e64 v210, v85, v90
	v_sub_f16_e32 v85, v90, v85
	v_fma_f16 v90, -0.5, v151, v86
	v_fmac_f16_e64 v86, -0.5, v203
	v_add_f16_e32 v92, v92, v99
	v_add_f16_e64 v99, v201, v210
	v_add_f16_e64 v85, v197, v85
	v_fma_f16 v201, 0xbb9c, v101, v89
	v_fma_f16 v197, 0xbb9c, v88, v86
	v_fmac_f16_e32 v86, 0x3b9c, v88
	v_fma_f16 v203, 0x3b9c, v94, v90
	v_fmac_f16_e32 v90, 0xbb9c, v94
	;; [unrolled: 2-line block ×3, first 2 shown]
	v_fmac_f16_e32 v89, 0x3b9c, v101
	v_fmac_f16_e64 v197, 0x38b4, v94
	v_fmac_f16_e32 v86, 0xb8b4, v94
	v_fmac_f16_e64 v203, 0x38b4, v88
	v_fmac_f16_e64 v201, 0xb8b4, v103
	v_fmac_f16_e32 v90, 0xb8b4, v88
	v_fmac_f16_e64 v151, 0xb8b4, v101
	v_fmac_f16_e32 v93, 0x38b4, v101
	;; [unrolled: 2-line block ×3, first 2 shown]
	v_fmac_f16_e64 v203, 0x34f2, v99
	v_fmac_f16_e64 v201, 0x34f2, v87
	v_fmac_f16_e32 v89, 0x38b4, v103
	v_fmac_f16_e32 v90, 0x34f2, v99
	v_fmac_f16_e64 v151, 0x34f2, v92
	v_fmac_f16_e32 v93, 0x34f2, v92
	v_mul_f16_e64 v85, 0xb8b4, v203
	v_mul_f16_e64 v88, 0x38b4, v201
	;; [unrolled: 1-line block ×3, first 2 shown]
	v_fmac_f16_e32 v89, 0x34f2, v87
	v_mul_f16_e64 v87, 0x34f2, v197
	v_mul_f16_e32 v94, 0xbb9c, v86
	v_mul_f16_e32 v86, 0xb4f2, v86
	;; [unrolled: 1-line block ×4, first 2 shown]
	v_fmac_f16_e64 v85, 0x3a79, v201
	v_fmac_f16_e64 v88, 0x3a79, v203
	;; [unrolled: 1-line block ×4, first 2 shown]
	v_fmac_f16_e32 v94, 0xb4f2, v93
	v_fmac_f16_e32 v86, 0x3b9c, v93
	;; [unrolled: 1-line block ×4, first 2 shown]
	v_sub_f16_e64 v112, v112, v220
	v_add_f16_e64 v101, v148, v85
	v_sub_f16_e64 v103, v148, v85
	v_add_f16_e64 v148, v204, v92
	v_add_f16_e64 v197, v146, v94
	v_sub_f16_e64 v146, v146, v94
	v_add_f16_e64 v201, v200, v99
	v_sub_f16_e64 v200, v200, v99
	;; [unrolled: 2-line block ×3, first 2 shown]
	v_add_f16_e64 v153, v110, v87
	v_add_f16_e64 v203, v95, v86
	v_sub_f16_e64 v151, v204, v92
	v_sub_f16_e32 v110, v110, v87
	v_add_f16_e64 v210, v130, v90
	v_pack_b32_f16 v104, v104, v218
	v_sub_f16_e64 v204, v95, v86
	v_sub_f16_e64 v130, v130, v90
	v_pack_b32_f16 v86, v113, v102
	v_pk_add_f16 v85, v96, v91
	v_pk_add_f16 v88, v96, v91 neg_lo:[0,1] neg_hi:[0,1]
	v_pack_b32_f16 v90, v111, v150
	v_pack_b32_f16 v89, v107, v100
	;; [unrolled: 1-line block ×5, first 2 shown]
	v_pk_add_f16 v93, v109, v97
	v_pack_b32_f16 v96, v197, v203
	v_pack_b32_f16 v95, v148, v153
	;; [unrolled: 1-line block ×3, first 2 shown]
	v_pk_add_f16 v98, v109, v97 neg_lo:[0,1] neg_hi:[0,1]
	v_pack_b32_f16 v100, v151, v110
	v_pack_b32_f16 v99, v103, v99
	;; [unrolled: 1-line block ×5, first 2 shown]
	ds_store_2addr_b64 v191, v[85:86], v[104:105] offset1:1
	ds_store_2addr_b64 v191, v[87:88], v[89:90] offset0:2 offset1:3
	ds_store_b64 v191, v[91:92] offset:32
	ds_store_2addr_b64 v194, v[93:94], v[95:96] offset1:1
	ds_store_2addr_b64 v194, v[97:98], v[99:100] offset0:2 offset1:3
	ds_store_b64 v194, v[101:102] offset:32
	s_and_saveexec_b32 s0, vcc_lo
	s_cbranch_execz .LBB0_13
; %bb.12:
	v_sub_f16_e64 v86, v133, v132
	v_sub_f16_e64 v87, v183, v182
	v_sub_f16_e32 v88, v84, v80
	v_sub_f16_e64 v90, v144, v139
	v_sub_f16_e64 v91, v184, v185
	v_sub_f16_e32 v94, v76, v78
	v_add_f16_e64 v96, v144, v184
	v_add_f16_e32 v98, v84, v76
	v_add_f16_e64 v101, v133, v183
	v_add_f16_e32 v85, v80, v78
	v_sub_f16_e32 v93, v80, v78
	v_sub_f16_e64 v95, v139, v185
	v_add_f16_e32 v90, v90, v91
	v_sub_f16_e64 v91, v132, v133
	v_sub_f16_e64 v97, v182, v183
	v_add_f16_e32 v88, v88, v94
	v_add_f16_e32 v86, v86, v87
	v_fma_f16 v87, -0.5, v96, v142
	v_fma_f16 v94, -0.5, v98, v82
	v_sub_f16_e32 v99, v80, v84
	v_sub_f16_e32 v100, v78, v76
	;; [unrolled: 1-line block ×3, first 2 shown]
	v_fma_f16 v101, -0.5, v101, v138
	v_sub_f16_e32 v89, v84, v76
	v_fma_f16 v85, -0.5, v85, v82
	v_sub_f16_e64 v92, v144, v184
	v_add_f16_e32 v91, v91, v97
	v_sub_f16_e64 v96, v139, v144
	v_sub_f16_e64 v97, v185, v184
	v_fmamk_f16 v98, v93, 0x3b9c, v87
	v_fmac_f16_e32 v87, 0xbb9c, v93
	v_add_f16_e32 v99, v99, v100
	v_fmamk_f16 v100, v95, 0xbb9c, v94
	v_fmac_f16_e32 v94, 0x3b9c, v95
	v_fmamk_f16 v103, v102, 0x3b9c, v101
	v_sub_f16_e32 v104, v83, v75
	v_fmac_f16_e32 v101, 0xbb9c, v102
	v_add_f16_e64 v105, v132, v182
	v_add_f16_e32 v96, v96, v97
	v_fmamk_f16 v97, v92, 0x3b9c, v85
	v_fmac_f16_e32 v98, 0xb8b4, v89
	v_fmac_f16_e32 v87, 0x38b4, v89
	;; [unrolled: 1-line block ×7, first 2 shown]
	v_fma_f16 v92, -0.5, v105, v138
	v_fmac_f16_e32 v98, 0x34f2, v96
	v_fmac_f16_e32 v87, 0x34f2, v96
	v_add_f16_e64 v96, v139, v185
	v_fmac_f16_e32 v103, 0x34f2, v91
	v_fmac_f16_e32 v101, 0x34f2, v91
	v_fmamk_f16 v91, v104, 0xbb9c, v92
	v_fmac_f16_e32 v92, 0x3b9c, v104
	v_fma_f16 v96, -0.5, v96, v142
	v_add_f16_e32 v104, v83, v75
	v_fmac_f16_e32 v97, 0x38b4, v95
	v_fmac_f16_e32 v91, 0xb8b4, v102
	;; [unrolled: 1-line block ×3, first 2 shown]
	v_fmamk_f16 v106, v89, 0xbb9c, v96
	v_fmac_f16_e32 v96, 0x3b9c, v89
	v_fmac_f16_e32 v85, 0xb8b4, v95
	;; [unrolled: 1-line block ×4, first 2 shown]
	v_add_f16_e32 v86, v79, v77
	v_fmac_f16_e32 v96, 0x38b4, v93
	v_sub_f16_e64 v105, v133, v183
	v_sub_f16_e32 v107, v83, v79
	v_fma_f16 v104, -0.5, v104, v81
	v_fma_f16 v86, -0.5, v86, v81
	v_add_f16_e32 v81, v81, v83
	v_add_f16_e32 v82, v82, v84
	v_sub_f16_e32 v83, v79, v83
	v_sub_f16_e32 v84, v77, v75
	v_fmac_f16_e32 v97, 0x34f2, v88
	v_fmac_f16_e32 v85, 0x34f2, v88
	v_mul_f16_e32 v88, 0xb4f2, v98
	v_fmac_f16_e32 v96, 0x34f2, v90
	v_sub_f16_e64 v108, v132, v182
	v_sub_f16_e32 v109, v75, v77
	v_add_f16_e32 v83, v83, v84
	v_mul_f16_e32 v84, 0xbb9c, v98
	v_fmamk_f16 v98, v105, 0x3b9c, v86
	v_fmac_f16_e32 v86, 0xbb9c, v105
	v_add_f16_e32 v79, v81, v79
	v_add_f16_e32 v80, v82, v80
	;; [unrolled: 1-line block ×3, first 2 shown]
	v_mul_f16_e32 v82, 0xb8b4, v96
	v_fmac_f16_e32 v86, 0xb8b4, v108
	v_add_f16_e32 v77, v79, v77
	v_add_f16_e32 v78, v80, v78
	v_fmac_f16_e32 v94, 0x34f2, v99
	v_mul_f16_e32 v102, 0x34f2, v87
	v_mul_f16_e32 v81, 0xbb9c, v87
	v_fmac_f16_e32 v86, 0x34f2, v107
	v_fmac_f16_e32 v82, 0x3a79, v85
	v_add_f16_e32 v75, v77, v75
	v_add_f16_e32 v76, v78, v76
	v_fmac_f16_e32 v102, 0x3b9c, v94
	v_fmac_f16_e32 v81, 0x34f2, v94
	v_sub_f16_e32 v87, v86, v82
	v_add_f16_e32 v82, v86, v82
	v_sub_f16_e32 v94, v75, v76
	v_add_f16_e32 v86, v75, v76
	scratch_load_b32 v75, off, off offset:200 ; 4-byte Folded Reload
	v_fmac_f16_e32 v106, 0xb8b4, v93
	v_fmac_f16_e32 v100, 0x34f2, v99
	v_add_f16_e64 v95, v142, v144
	v_add_f16_e64 v99, v138, v133
	v_fmac_f16_e32 v98, 0x38b4, v108
	v_fmac_f16_e32 v106, 0x34f2, v90
	v_mul_f16_e32 v90, 0x38b4, v85
	v_add_f16_e64 v93, v95, v139
	v_add_f16_e64 v99, v99, v132
	v_fmac_f16_e32 v88, 0x3b9c, v100
	v_mul_f16_e32 v89, 0xba79, v106
	v_mul_f16_e32 v106, 0xb8b4, v106
	v_add_f16_e64 v93, v93, v185
	v_add_f16_e64 v99, v99, v182
	v_fmac_f16_e32 v90, 0x3a79, v96
	v_fmac_f16_e32 v89, 0x38b4, v97
	;; [unrolled: 1-line block ×3, first 2 shown]
	v_fmamk_f16 v97, v108, 0xbb9c, v104
	v_fmac_f16_e32 v104, 0x3b9c, v108
	v_add_f16_e64 v99, v99, v183
	v_add_f16_e64 v93, v93, v184
	v_fmac_f16_e32 v84, 0xb4f2, v100
	v_fmac_f16_e32 v97, 0x38b4, v105
	;; [unrolled: 1-line block ×4, first 2 shown]
	v_sub_f16_e32 v110, v103, v88
	v_add_f16_e32 v77, v103, v88
	v_fmac_f16_e32 v97, 0x34f2, v83
	v_fmac_f16_e32 v104, 0x34f2, v83
	v_add_f16_e32 v78, v101, v102
	v_add_f16_e32 v80, v92, v90
	;; [unrolled: 1-line block ×3, first 2 shown]
	v_sub_f16_e32 v85, v97, v84
	v_sub_f16_e32 v79, v104, v81
	v_add_f16_e32 v84, v97, v84
	v_add_f16_e32 v81, v104, v81
	v_sub_f16_e32 v95, v91, v89
	v_sub_f16_e32 v109, v101, v102
	;; [unrolled: 1-line block ×4, first 2 shown]
	v_add_f16_e32 v89, v91, v89
	v_add_f16_e32 v90, v98, v106
	v_sub_f16_e32 v83, v98, v106
	v_pack_b32_f16 v76, v84, v77
	v_pack_b32_f16 v77, v86, v88
	s_delay_alu instid0(VALU_DEP_3)
	v_pack_b32_f16 v84, v83, v95
	v_pack_b32_f16 v83, v85, v110
	s_waitcnt vmcnt(0)
	v_lshlrev_b32_e32 v91, 2, v75
	v_pack_b32_f16 v75, v81, v78
	v_pack_b32_f16 v78, v82, v80
	v_pack_b32_f16 v80, v79, v109
	v_pack_b32_f16 v79, v87, v100
	v_pack_b32_f16 v81, v90, v89
	v_pack_b32_f16 v82, v94, v105
	ds_store_2addr_b64 v91, v[77:78], v[75:76] offset1:1
	ds_store_2addr_b64 v91, v[81:82], v[79:80] offset0:2 offset1:3
	ds_store_b64 v91, v[83:84] offset:32
.LBB0_13:
	s_or_b32 exec_lo, exec_lo, s0
	v_add_nc_u32_e32 v78, 0x400, v115
	s_waitcnt lgkmcnt(0)
	s_barrier
	buffer_gl0_inv
	v_add_nc_u32_e32 v77, 0xa00, v115
	ds_load_2addr_b32 v[80:81], v78 offset0:104 offset1:164
	s_mov_b32 s10, 0xc901e574
	s_mov_b32 s11, 0x3f3e573a
	s_mul_i32 s9, s13, 0x6c0
	ds_load_2addr_b32 v[82:83], v77 offset0:80 offset1:140
	s_waitcnt lgkmcnt(1)
	v_lshrrev_b32_e32 v75, 16, v80
	v_mul_f16_e64 v76, v246, v80
	s_delay_alu instid0(VALU_DEP_2) | instskip(NEXT) | instid1(VALU_DEP_2)
	v_mul_f16_e64 v106, v246, v75
	v_fma_f16 v107, v4, v75, -v76
	s_waitcnt lgkmcnt(0)
	v_lshrrev_b32_e32 v75, 16, v82
	v_mul_f16_e64 v76, v245, v82
	v_fmac_f16_e32 v106, v4, v80
	v_lshrrev_b32_e32 v4, 16, v81
	s_delay_alu instid0(VALU_DEP_4) | instskip(NEXT) | instid1(VALU_DEP_4)
	v_mul_f16_e64 v113, v245, v75
	v_fma_f16 v114, v5, v75, -v76
	v_add_nc_u32_e32 v75, 0x1000, v115
	s_delay_alu instid0(VALU_DEP_4) | instskip(NEXT) | instid1(VALU_DEP_4)
	v_mul_f16_e64 v93, v237, v4
	v_fmac_f16_e32 v113, v5, v82
	v_mul_f16_e64 v5, v237, v81
	ds_load_2addr_b32 v[84:85], v75 offset0:56 offset1:116
	v_fmac_f16_e32 v93, v0, v81
	v_fma_f16 v98, v0, v4, -v5
	v_add_nc_u32_e32 v5, 0x600, v115
	s_waitcnt lgkmcnt(0)
	v_lshrrev_b32_e32 v76, 16, v84
	v_mul_f16_e64 v79, v244, v84
	v_mul_f16_e64 v80, v240, v85
	s_delay_alu instid0(VALU_DEP_3) | instskip(NEXT) | instid1(VALU_DEP_3)
	v_mul_f16_e64 v130, v244, v76
	v_fma_f16 v131, v6, v76, -v79
	v_add_nc_u32_e32 v79, 0x1400, v115
	s_delay_alu instid0(VALU_DEP_3)
	v_fmac_f16_e64 v130, v6, v84
	v_lshrrev_b32_e32 v6, 16, v83
	ds_load_2addr_b32 v[86:87], v79 offset0:160 offset1:220
	s_waitcnt lgkmcnt(0)
	v_lshrrev_b32_e32 v76, 16, v86
	v_mul_f16_e64 v88, v247, v86
	v_lshrrev_b32_e32 v81, 16, v87
	v_mul_f16_e64 v82, v243, v87
	s_delay_alu instid0(VALU_DEP_4) | instskip(NEXT) | instid1(VALU_DEP_4)
	v_mul_f16_e64 v132, v247, v76
	v_fma_f16 v133, v7, v76, -v88
	v_lshrrev_b32_e32 v76, 16, v85
	v_mul_f16_e64 v102, v243, v81
	v_fma_f16 v103, v3, v81, -v82
	v_fmac_f16_e64 v132, v7, v86
	v_lshrrev_b32_e32 v7, 16, v1
	v_mul_f16_e64 v104, v240, v76
	v_fmac_f16_e32 v102, v3, v87
	v_fma_f16 v108, v2, v76, -v80
	ds_load_2addr_b32 v[80:81], v75 offset0:176 offset1:236
	v_mul_f16_e32 v101, v7, v6
	v_mul_f16_e32 v7, v7, v83
	v_fmac_f16_e32 v104, v2, v85
	v_add_nc_u32_e32 v76, 0x1800, v115
	s_delay_alu instid0(VALU_DEP_4) | instskip(NEXT) | instid1(VALU_DEP_4)
	v_fmac_f16_e32 v101, v1, v83
	v_fma_f16 v105, v1, v6, -v7
	ds_load_2addr_b32 v[0:1], v5 offset0:96 offset1:156
	v_add_nc_u32_e32 v6, 0xc00, v115
	ds_load_2addr_b32 v[84:85], v76 offset0:24 offset1:84
	ds_load_2addr_b32 v[109:110], v76 offset0:144 offset1:204
	s_waitcnt lgkmcnt(2)
	v_lshrrev_b32_e32 v2, 16, v0
	v_mul_f16_e64 v3, v255, v0
	s_waitcnt lgkmcnt(0)
	v_mul_f16_e64 v111, v181, v110
	s_delay_alu instid0(VALU_DEP_3) | instskip(NEXT) | instid1(VALU_DEP_3)
	v_mul_f16_e64 v87, v255, v2
	v_fma_f16 v88, v32, v2, -v3
	ds_load_2addr_b32 v[2:3], v6 offset0:72 offset1:132
	v_fmac_f16_e32 v87, v32, v0
	v_lshrrev_b32_e32 v0, 16, v1
	v_lshrrev_b32_e32 v32, 16, v85
	s_waitcnt lgkmcnt(0)
	v_lshrrev_b32_e32 v4, 16, v2
	v_mul_f16_e32 v7, v117, v2
	s_delay_alu instid0(VALU_DEP_2) | instskip(NEXT) | instid1(VALU_DEP_2)
	v_mul_f16_e32 v96, v117, v4
	v_fma_f16 v97, v33, v4, -v7
	v_lshrrev_b32_e32 v4, 16, v80
	v_mul_f16_e32 v7, v119, v80
	s_delay_alu instid0(VALU_DEP_4)
	v_fmac_f16_e32 v96, v33, v2
	v_mul_f16_e64 v33, v251, v0
	v_lshrrev_b32_e32 v2, 16, v3
	v_mul_f16_e32 v95, v119, v4
	v_fma_f16 v94, v34, v4, -v7
	v_lshrrev_b32_e32 v4, 16, v84
	v_fmac_f16_e32 v33, v28, v1
	v_mul_f16_e64 v1, v251, v1
	v_mul_f16_e32 v7, v121, v84
	v_mul_f16_e64 v83, v252, v2
	v_mul_f16_e32 v100, v121, v4
	v_fmac_f16_e32 v95, v34, v80
	v_fma_f16 v82, v28, v0, -v1
	v_add_nc_u32_e32 v28, 0x800, v115
	v_fma_f16 v99, v35, v4, -v7
	v_fmac_f16_e32 v83, v29, v3
	v_mul_f16_e64 v3, v252, v3
	v_lshrrev_b32_e32 v4, 16, v81
	ds_load_2addr_b32 v[0:1], v28 offset0:88 offset1:148
	v_mul_f16_e64 v7, v253, v81
	v_fmac_f16_e32 v100, v35, v84
	v_fma_f16 v91, v29, v2, -v3
	v_mul_f16_e64 v90, v253, v4
	v_mul_f16_e64 v84, v254, v32
	v_mul_f16_e64 v34, v254, v85
	v_fma_f16 v92, v30, v4, -v7
	v_sub_f16_e64 v121, v113, v132
	v_fmac_f16_e32 v90, v30, v81
	v_fmac_f16_e32 v84, v31, v85
	v_fma_f16 v89, v31, v32, -v34
	ds_load_2addr_b32 v[31:32], v79 offset0:40 offset1:100
	s_waitcnt lgkmcnt(1)
	v_lshrrev_b32_e32 v2, 16, v0
	v_mul_f16_e64 v3, v134, v0
	s_delay_alu instid0(VALU_DEP_2) | instskip(NEXT) | instid1(VALU_DEP_2)
	v_mul_f16_e64 v29, v134, v2
	v_fma_f16 v30, v24, v2, -v3
	ds_load_2addr_b32 v[2:3], v6 offset0:192 offset1:252
	v_fmac_f16_e32 v29, v24, v0
	v_lshrrev_b32_e32 v0, 16, v1
	s_waitcnt lgkmcnt(0)
	v_lshrrev_b32_e32 v4, 16, v2
	v_mul_f16_e64 v7, v135, v2
	s_delay_alu instid0(VALU_DEP_2) | instskip(NEXT) | instid1(VALU_DEP_2)
	v_mul_f16_e64 v80, v135, v4
	v_fma_f16 v81, v25, v4, -v7
	v_lshrrev_b32_e32 v4, 16, v31
	v_mul_f16_e64 v7, v136, v31
	s_delay_alu instid0(VALU_DEP_4) | instskip(SKIP_1) | instid1(VALU_DEP_4)
	v_fmac_f16_e32 v80, v25, v2
	v_lshrrev_b32_e32 v2, 16, v3
	v_mul_f16_e64 v35, v136, v4
	s_delay_alu instid0(VALU_DEP_4) | instskip(SKIP_4) | instid1(VALU_DEP_4)
	v_fma_f16 v34, v26, v4, -v7
	v_lshrrev_b32_e32 v4, 16, v109
	v_mul_f16_e64 v7, v137, v109
	v_mul_f16_e32 v25, v126, v2
	v_fmac_f16_e32 v35, v26, v31
	v_mul_f16_e64 v86, v137, v4
	s_delay_alu instid0(VALU_DEP_4)
	v_fma_f16 v85, v27, v4, -v7
	v_mul_f16_e32 v7, v125, v0
	v_lshrrev_b32_e32 v4, 16, v32
	v_fmac_f16_e32 v25, v21, v3
	v_fmac_f16_e32 v86, v27, v109
	v_lshrrev_b32_e32 v109, 16, v110
	v_fmac_f16_e32 v7, v20, v1
	v_mul_f16_e32 v1, v125, v1
	v_mul_f16_e64 v27, v129, v4
	v_mul_f16_e32 v3, v126, v3
	v_mul_f16_e64 v26, v181, v109
	s_delay_alu instid0(VALU_DEP_4) | instskip(NEXT) | instid1(VALU_DEP_4)
	v_fma_f16 v24, v20, v0, -v1
	v_fmac_f16_e32 v27, v22, v32
	v_mul_f16_e64 v32, v129, v32
	v_add_nc_u32_e32 v20, 0x1c00, v115
	v_fmac_f16_e32 v26, v23, v110
	v_fma_f16 v31, v21, v2, -v3
	v_lshrrev_b32_e32 v2, 16, v180
	v_fma_f16 v32, v22, v4, -v32
	v_fma_f16 v22, v23, v109, -v111
	ds_load_2addr_b32 v[109:110], v20 offset0:8 offset1:68
	ds_load_2addr_b32 v[111:112], v115 offset1:60
	v_add_f16_e64 v3, v114, v133
	v_add_f16_e64 v4, v107, v131
	s_waitcnt lgkmcnt(1)
	v_lshrrev_b32_e32 v0, 16, v109
	v_mul_f16_e32 v1, v2, v109
	s_waitcnt lgkmcnt(0)
	v_lshrrev_b32_e32 v23, 16, v111
	s_delay_alu instid0(VALU_DEP_3) | instskip(NEXT) | instid1(VALU_DEP_3)
	v_mul_f16_e32 v2, v2, v0
	v_fma_f16 v0, v180, v0, -v1
	s_delay_alu instid0(VALU_DEP_3) | instskip(SKIP_1) | instid1(VALU_DEP_4)
	v_add_f16_e32 v1, v23, v114
	v_fmac_f16_e32 v23, -0.5, v3
	v_fmac_f16_e64 v2, v180, v109
	s_delay_alu instid0(VALU_DEP_4) | instskip(NEXT) | instid1(VALU_DEP_4)
	v_add_f16_e64 v3, v131, v0
	v_add_f16_e64 v117, v1, v133
	v_add_f16_e32 v1, v111, v113
	v_sub_f16_e64 v109, v114, v133
	v_add_f16_e64 v21, v130, v2
	v_fmac_f16_e32 v107, -0.5, v3
	v_sub_f16_e64 v129, v130, v2
	v_add_f16_e64 v119, v1, v132
	v_add_f16_e64 v1, v113, v132
	;; [unrolled: 1-line block ×3, first 2 shown]
	v_fmac_f16_e32 v106, -0.5, v21
	v_sub_f16_e64 v131, v131, v0
	v_add_f16_e64 v132, v4, v0
	v_fma_f16 v0, 0x3aee, v129, v107
	v_fma_f16 v111, -0.5, v1, v111
	v_fmac_f16_e64 v107, 0xbaee, v129
	v_add_f16_e64 v130, v3, v2
	v_fma_f16 v137, 0x3aee, v121, v23
	v_mul_f16_e64 v133, 0xbaee, v0
	v_mul_f16_e64 v134, 0.5, v0
	v_fma_f16 v0, 0xbaee, v131, v106
	v_fma_f16 v136, 0xbaee, v109, v111
	v_fmac_f16_e32 v111, 0x3aee, v109
	v_fmac_f16_e64 v106, 0x3aee, v131
	v_mul_f16_e32 v109, 0xbaee, v107
	v_mul_f16_e32 v107, -0.5, v107
	v_fmac_f16_e32 v23, 0xbaee, v121
	v_fmac_f16_e64 v133, 0.5, v0
	v_fmac_f16_e64 v134, 0x3aee, v0
	v_fmac_f16_e32 v109, -0.5, v106
	v_fmac_f16_e32 v107, 0x3aee, v106
	v_add_f16_e64 v0, v119, v130
	v_add_f16_e64 v2, v117, v132
	v_sub_f16_e64 v106, v119, v130
	v_sub_f16_e64 v117, v117, v132
	v_add_f16_e32 v119, v111, v109
	v_add_f16_e32 v121, v23, v107
	v_pack_b32_f16 v135, v0, v2
	v_add_f16_e64 v0, v136, v133
	v_add_f16_e64 v1, v137, v134
	v_pack_b32_f16 v106, v106, v117
	v_pack_b32_f16 v119, v119, v121
	v_add_nc_u32_e32 v4, 0x200, v115
	v_add_nc_u32_e32 v21, 0x1e00, v115
	v_pack_b32_f16 v138, v0, v1
	ds_load_2addr_b32 v[113:114], v115 offset0:120 offset1:180
	ds_load_2addr_b32 v[125:126], v20 offset0:128 offset1:188
	;; [unrolled: 1-line block ×4, first 2 shown]
	s_waitcnt lgkmcnt(0)
	s_barrier
	buffer_gl0_inv
	ds_store_2addr_b32 v198, v119, v106 offset0:20 offset1:30
	v_sub_f16_e64 v106, v136, v133
	v_sub_f16_e32 v109, v111, v109
	v_sub_f16_e64 v111, v137, v134
	v_sub_f16_e32 v23, v23, v107
	v_lshrrev_b32_e32 v107, 16, v179
	v_add_f16_e32 v117, v93, v104
	v_add_f16_e32 v119, v98, v108
	v_pack_b32_f16 v106, v106, v111
	v_pack_b32_f16 v23, v109, v23
	v_lshrrev_b32_e32 v109, 16, v112
	ds_store_2addr_b32 v198, v135, v138 offset1:10
	ds_store_2addr_b32 v198, v106, v23 offset0:40 offset1:50
	v_lshrrev_b32_e32 v23, 16, v110
	s_delay_alu instid0(VALU_DEP_1) | instskip(SKIP_1) | instid1(VALU_DEP_2)
	v_mul_f16_e32 v106, v107, v23
	v_mul_f16_e32 v107, v107, v110
	v_fmac_f16_e64 v106, v179, v110
	s_delay_alu instid0(VALU_DEP_2) | instskip(SKIP_3) | instid1(VALU_DEP_3)
	v_fma_f16 v23, v179, v23, -v107
	v_add_f16_e32 v107, v101, v102
	v_add_f16_e32 v110, v112, v101
	v_sub_f16_e32 v101, v101, v102
	v_fmac_f16_e32 v112, -0.5, v107
	v_sub_f16_e32 v107, v105, v103
	s_delay_alu instid0(VALU_DEP_4) | instskip(NEXT) | instid1(VALU_DEP_2)
	v_add_f16_e32 v102, v110, v102
	v_fmamk_f16 v111, v107, 0xbaee, v112
	v_fmac_f16_e32 v112, 0x3aee, v107
	v_add_f16_e32 v107, v104, v106
	v_sub_f16_e32 v104, v104, v106
	s_delay_alu instid0(VALU_DEP_2) | instskip(SKIP_1) | instid1(VALU_DEP_1)
	v_fmac_f16_e32 v93, -0.5, v107
	v_add_f16_e32 v107, v108, v23
	v_fmac_f16_e32 v98, -0.5, v107
	s_delay_alu instid0(VALU_DEP_1) | instskip(SKIP_3) | instid1(VALU_DEP_2)
	v_fmamk_f16 v107, v104, 0x3aee, v98
	v_fmac_f16_e32 v98, 0xbaee, v104
	v_sub_f16_e32 v104, v108, v23
	v_add_f16_e32 v23, v119, v23
	v_fmamk_f16 v108, v104, 0xbaee, v93
	v_fmac_f16_e32 v93, 0x3aee, v104
	v_mul_f16_e32 v104, 0xbaee, v98
	v_mul_f16_e32 v98, -0.5, v98
	s_delay_alu instid0(VALU_DEP_2) | instskip(NEXT) | instid1(VALU_DEP_2)
	v_fmac_f16_e32 v104, -0.5, v93
	v_fmac_f16_e32 v98, 0x3aee, v93
	s_delay_alu instid0(VALU_DEP_2) | instskip(SKIP_3) | instid1(VALU_DEP_2)
	v_add_f16_e32 v121, v112, v104
	v_sub_f16_e32 v104, v112, v104
	v_add_f16_e32 v112, v105, v103
	v_add_f16_e32 v105, v109, v105
	v_fmac_f16_e32 v109, -0.5, v112
	s_delay_alu instid0(VALU_DEP_2) | instskip(SKIP_3) | instid1(VALU_DEP_4)
	v_add_f16_e32 v103, v105, v103
	v_add_f16_e32 v105, v117, v106
	v_mul_f16_e32 v106, 0xbaee, v107
	v_mul_f16_e32 v107, 0.5, v107
	v_add_f16_e32 v110, v103, v23
	s_delay_alu instid0(VALU_DEP_4) | instskip(NEXT) | instid1(VALU_DEP_4)
	v_sub_f16_e32 v93, v102, v105
	v_fmac_f16_e32 v106, 0.5, v108
	s_delay_alu instid0(VALU_DEP_4) | instskip(SKIP_4) | instid1(VALU_DEP_4)
	v_fmac_f16_e32 v107, 0x3aee, v108
	v_add_f16_e32 v108, v102, v105
	v_sub_f16_e32 v23, v103, v23
	v_add_f16_e32 v103, v96, v100
	v_add_f16_e32 v112, v111, v106
	v_pack_b32_f16 v108, v108, v110
	v_fmamk_f16 v110, v101, 0x3aee, v109
	v_fmac_f16_e32 v109, 0xbaee, v101
	v_pack_b32_f16 v23, v93, v23
	v_fma_f16 v103, -0.5, v103, v113
	s_delay_alu instid0(VALU_DEP_4) | instskip(NEXT) | instid1(VALU_DEP_4)
	v_sub_f16_e32 v93, v110, v107
	v_add_f16_e32 v101, v109, v98
	v_sub_f16_e32 v98, v109, v98
	v_add_f16_e32 v117, v110, v107
	s_delay_alu instid0(VALU_DEP_3) | instskip(NEXT) | instid1(VALU_DEP_2)
	v_pack_b32_f16 v101, v121, v101
	v_pack_b32_f16 v112, v112, v117
	ds_store_2addr_b32 v195, v101, v23 offset0:20 offset1:30
	v_sub_f16_e32 v23, v111, v106
	v_add_f16_e32 v101, v97, v99
	ds_store_2addr_b32 v195, v108, v112 offset1:10
	v_pack_b32_f16 v23, v23, v93
	v_pack_b32_f16 v93, v104, v98
	v_lshrrev_b32_e32 v98, 16, v190
	v_add_f16_e32 v104, v88, v94
	ds_store_2addr_b32 v195, v23, v93 offset0:40 offset1:50
	v_lshrrev_b32_e32 v23, 16, v125
	v_mul_f16_e32 v93, v98, v125
	s_delay_alu instid0(VALU_DEP_2) | instskip(NEXT) | instid1(VALU_DEP_2)
	v_mul_f16_e32 v98, v98, v23
	v_fma_f16 v23, v190, v23, -v93
	v_lshrrev_b32_e32 v93, 16, v113
	s_delay_alu instid0(VALU_DEP_3) | instskip(NEXT) | instid1(VALU_DEP_2)
	v_fmac_f16_e64 v98, v190, v125
	v_add_f16_e32 v102, v93, v97
	v_fmac_f16_e32 v93, -0.5, v101
	v_add_f16_e32 v101, v113, v96
	v_sub_f16_e32 v96, v96, v100
	v_sub_f16_e32 v97, v97, v99
	v_add_f16_e32 v99, v102, v99
	v_add_f16_e32 v102, v87, v95
	;; [unrolled: 1-line block ×4, first 2 shown]
	v_sub_f16_e32 v95, v95, v98
	v_fmamk_f16 v106, v96, 0x3aee, v93
	v_add_f16_e32 v98, v102, v98
	v_fmac_f16_e32 v93, 0xbaee, v96
	v_fmac_f16_e32 v87, -0.5, v100
	v_add_f16_e32 v100, v94, v23
	v_sub_f16_e32 v94, v94, v23
	v_add_f16_e32 v23, v104, v23
	s_delay_alu instid0(VALU_DEP_3) | instskip(NEXT) | instid1(VALU_DEP_3)
	v_fmac_f16_e32 v88, -0.5, v100
	v_fmamk_f16 v104, v94, 0xbaee, v87
	s_delay_alu instid0(VALU_DEP_3)
	v_add_f16_e32 v105, v99, v23
	v_fmac_f16_e32 v87, 0x3aee, v94
	v_sub_f16_e32 v23, v99, v23
	v_fmamk_f16 v100, v95, 0x3aee, v88
	v_fmac_f16_e32 v88, 0xbaee, v95
	v_add_f16_e32 v99, v91, v89
	s_delay_alu instid0(VALU_DEP_3) | instskip(SKIP_1) | instid1(VALU_DEP_4)
	v_mul_f16_e32 v102, 0xbaee, v100
	v_mul_f16_e32 v100, 0.5, v100
	v_mul_f16_e32 v94, 0xbaee, v88
	v_mul_f16_e32 v88, -0.5, v88
	s_delay_alu instid0(VALU_DEP_4) | instskip(NEXT) | instid1(VALU_DEP_4)
	v_fmac_f16_e32 v102, 0.5, v104
	v_fmac_f16_e32 v100, 0x3aee, v104
	v_add_f16_e32 v104, v101, v98
	v_fmac_f16_e32 v94, -0.5, v87
	v_fmac_f16_e32 v88, 0x3aee, v87
	v_sub_f16_e32 v87, v101, v98
	v_add_f16_e32 v108, v106, v100
	v_pack_b32_f16 v104, v104, v105
	v_fmamk_f16 v105, v97, 0xbaee, v103
	v_fmac_f16_e32 v103, 0x3aee, v97
	v_add_f16_e32 v96, v93, v88
	v_pack_b32_f16 v23, v87, v23
	v_sub_f16_e32 v88, v93, v88
	v_lshrrev_b32_e32 v93, 16, v114
	v_add_f16_e32 v95, v103, v94
	v_sub_f16_e32 v87, v103, v94
	v_sub_f16_e32 v94, v106, v100
	v_add_f16_e32 v97, v82, v92
	v_add_f16_e32 v107, v105, v102
	v_pack_b32_f16 v95, v95, v96
	v_pack_b32_f16 v87, v87, v88
	v_lshrrev_b32_e32 v88, 16, v188
	v_add_f16_e32 v96, v33, v90
	v_pack_b32_f16 v107, v107, v108
	ds_store_2addr_b32 v193, v95, v23 offset0:20 offset1:30
	v_sub_f16_e32 v23, v105, v102
	ds_store_2addr_b32 v193, v104, v107 offset1:10
	v_pack_b32_f16 v23, v23, v94
	v_add_f16_e32 v94, v114, v83
	ds_store_2addr_b32 v193, v23, v87 offset0:40 offset1:50
	v_lshrrev_b32_e32 v23, 16, v126
	s_delay_alu instid0(VALU_DEP_1) | instskip(SKIP_1) | instid1(VALU_DEP_2)
	v_mul_f16_e32 v87, v88, v23
	v_mul_f16_e32 v88, v88, v126
	v_fmac_f16_e64 v87, v188, v126
	s_delay_alu instid0(VALU_DEP_2) | instskip(SKIP_3) | instid1(VALU_DEP_3)
	v_fma_f16 v23, v188, v23, -v88
	v_add_f16_e32 v88, v83, v84
	v_sub_f16_e32 v83, v83, v84
	v_add_f16_e32 v84, v94, v84
	v_fmac_f16_e32 v114, -0.5, v88
	v_sub_f16_e32 v88, v91, v89
	v_add_f16_e32 v91, v93, v91
	v_fmac_f16_e32 v93, -0.5, v99
	s_delay_alu instid0(VALU_DEP_3) | instskip(SKIP_3) | instid1(VALU_DEP_2)
	v_fmamk_f16 v95, v88, 0xbaee, v114
	v_fmac_f16_e32 v114, 0x3aee, v88
	v_add_f16_e32 v88, v90, v87
	v_add_f16_e32 v89, v91, v89
	v_fmac_f16_e32 v33, -0.5, v88
	v_add_f16_e32 v88, v92, v23
	s_delay_alu instid0(VALU_DEP_1) | instskip(SKIP_2) | instid1(VALU_DEP_2)
	v_fmac_f16_e32 v82, -0.5, v88
	v_sub_f16_e32 v88, v90, v87
	v_add_f16_e32 v87, v96, v87
	v_fmamk_f16 v90, v88, 0x3aee, v82
	v_fmac_f16_e32 v82, 0xbaee, v88
	v_sub_f16_e32 v88, v92, v23
	v_add_f16_e32 v23, v97, v23
	s_delay_alu instid0(VALU_DEP_4) | instskip(SKIP_1) | instid1(VALU_DEP_4)
	v_mul_f16_e32 v91, 0xbaee, v90
	v_mul_f16_e32 v90, 0.5, v90
	v_fmamk_f16 v92, v88, 0xbaee, v33
	v_fmac_f16_e32 v33, 0x3aee, v88
	v_mul_f16_e32 v88, 0xbaee, v82
	v_add_f16_e32 v94, v89, v23
	v_mul_f16_e32 v82, -0.5, v82
	v_fmac_f16_e32 v91, 0.5, v92
	v_fmac_f16_e32 v90, 0x3aee, v92
	v_add_f16_e32 v92, v84, v87
	v_fmac_f16_e32 v88, -0.5, v33
	v_fmac_f16_e32 v82, 0x3aee, v33
	v_sub_f16_e32 v33, v84, v87
	v_sub_f16_e32 v23, v89, v23
	v_pack_b32_f16 v92, v92, v94
	v_fmamk_f16 v94, v83, 0x3aee, v93
	v_fmac_f16_e32 v93, 0xbaee, v83
	v_add_f16_e32 v98, v114, v88
	v_pack_b32_f16 v23, v33, v23
	v_sub_f16_e32 v88, v114, v88
	v_sub_f16_e32 v33, v94, v90
	v_add_f16_e32 v83, v93, v82
	v_sub_f16_e32 v82, v93, v82
	v_add_f16_e32 v84, v80, v86
	v_add_f16_e32 v87, v30, v34
	v_add_f16_e32 v96, v95, v91
	v_pack_b32_f16 v83, v98, v83
	v_add_f16_e32 v97, v94, v90
	ds_store_2addr_b32 v199, v83, v23 offset0:20 offset1:30
	v_sub_f16_e32 v23, v95, v91
	v_pack_b32_f16 v96, v96, v97
	s_delay_alu instid0(VALU_DEP_2)
	v_pack_b32_f16 v23, v23, v33
	v_pack_b32_f16 v33, v88, v82
	v_lshrrev_b32_e32 v82, 16, v187
	ds_store_2addr_b32 v199, v92, v96 offset1:10
	ds_store_2addr_b32 v199, v23, v33 offset0:40 offset1:50
	v_lshrrev_b32_e32 v23, 16, v2
	v_mul_f16_e32 v33, v82, v2
	s_delay_alu instid0(VALU_DEP_2) | instskip(NEXT) | instid1(VALU_DEP_2)
	v_mul_f16_e32 v82, v82, v23
	v_fma_f16 v23, v187, v23, -v33
	v_add_f16_e32 v33, v81, v85
	s_delay_alu instid0(VALU_DEP_3) | instskip(SKIP_1) | instid1(VALU_DEP_1)
	v_fmac_f16_e64 v82, v187, v2
	v_lshrrev_b32_e32 v2, 16, v0
	v_add_f16_e32 v83, v2, v81
	s_delay_alu instid0(VALU_DEP_4)
	v_fmac_f16_e32 v2, -0.5, v33
	v_add_f16_e32 v33, v0, v80
	v_sub_f16_e32 v81, v81, v85
	v_sub_f16_e32 v80, v80, v86
	v_add_f16_e32 v83, v83, v85
	v_add_f16_e32 v85, v35, v82
	;; [unrolled: 1-line block ×4, first 2 shown]
	v_sub_f16_e32 v35, v35, v82
	v_fma_f16 v0, -0.5, v84, v0
	v_fmac_f16_e32 v29, -0.5, v85
	v_add_f16_e32 v85, v34, v23
	v_sub_f16_e32 v34, v34, v23
	v_add_f16_e32 v82, v86, v82
	v_add_f16_e32 v23, v87, v23
	v_fmamk_f16 v84, v81, 0xbaee, v0
	v_fmac_f16_e32 v30, -0.5, v85
	v_fmamk_f16 v87, v34, 0xbaee, v29
	v_fmac_f16_e32 v29, 0x3aee, v34
	v_add_f16_e32 v88, v83, v23
	v_fmac_f16_e32 v0, 0x3aee, v81
	v_fmamk_f16 v85, v35, 0x3aee, v30
	v_fmac_f16_e32 v30, 0xbaee, v35
	v_sub_f16_e32 v23, v83, v23
	s_delay_alu instid0(VALU_DEP_3) | instskip(SKIP_1) | instid1(VALU_DEP_4)
	v_mul_f16_e32 v86, 0xbaee, v85
	v_mul_f16_e32 v85, 0.5, v85
	v_mul_f16_e32 v34, 0xbaee, v30
	v_mul_f16_e32 v30, -0.5, v30
	s_delay_alu instid0(VALU_DEP_4) | instskip(NEXT) | instid1(VALU_DEP_4)
	v_fmac_f16_e32 v86, 0.5, v87
	v_fmac_f16_e32 v85, 0x3aee, v87
	v_add_f16_e32 v87, v33, v82
	v_fmac_f16_e32 v34, -0.5, v29
	v_fmac_f16_e32 v30, 0x3aee, v29
	v_sub_f16_e32 v29, v33, v82
	v_add_f16_e32 v89, v84, v86
	v_pack_b32_f16 v87, v87, v88
	v_fmamk_f16 v88, v80, 0x3aee, v2
	v_fmac_f16_e32 v2, 0xbaee, v80
	v_add_f16_e32 v33, v0, v34
	v_pack_b32_f16 v23, v29, v23
	v_sub_f16_e32 v0, v0, v34
	v_sub_f16_e32 v29, v88, v85
	v_add_f16_e32 v35, v2, v30
	v_sub_f16_e32 v2, v2, v30
	v_add_f16_e32 v34, v24, v32
	v_add_f16_e32 v90, v88, v85
	s_delay_alu instid0(VALU_DEP_4) | instskip(NEXT) | instid1(VALU_DEP_4)
	v_pack_b32_f16 v33, v33, v35
	v_pack_b32_f16 v0, v0, v2
	s_delay_alu instid0(VALU_DEP_3)
	v_pack_b32_f16 v89, v89, v90
	ds_store_2addr_b32 v205, v33, v23 offset0:20 offset1:30
	v_sub_f16_e32 v23, v84, v86
	v_add_f16_e32 v33, v7, v27
	ds_store_2addr_b32 v205, v87, v89 offset1:10
	v_pack_b32_f16 v23, v23, v29
	v_add_f16_e32 v29, v1, v25
	ds_store_2addr_b32 v205, v23, v0 offset0:40 offset1:50
	v_lshrrev_b32_e32 v0, 16, v3
	v_lshrrev_b32_e32 v23, 16, v186
	s_delay_alu instid0(VALU_DEP_1) | instskip(SKIP_1) | instid1(VALU_DEP_2)
	v_mul_f16_e32 v2, v23, v0
	v_mul_f16_e32 v23, v23, v3
	v_fmac_f16_e64 v2, v186, v3
	v_add_f16_e32 v3, v25, v26
	s_delay_alu instid0(VALU_DEP_3) | instskip(SKIP_1) | instid1(VALU_DEP_3)
	v_fma_f16 v0, v186, v0, -v23
	v_lshrrev_b32_e32 v23, 16, v1
	v_fmac_f16_e32 v1, -0.5, v3
	v_sub_f16_e32 v3, v31, v22
	s_delay_alu instid0(VALU_DEP_1) | instskip(SKIP_2) | instid1(VALU_DEP_1)
	v_fmamk_f16 v30, v3, 0xbaee, v1
	v_fmac_f16_e32 v1, 0x3aee, v3
	v_add_f16_e32 v3, v27, v2
	v_fmac_f16_e32 v7, -0.5, v3
	v_add_f16_e32 v3, v32, v0
	s_delay_alu instid0(VALU_DEP_1) | instskip(SKIP_2) | instid1(VALU_DEP_2)
	v_fmac_f16_e32 v24, -0.5, v3
	v_sub_f16_e32 v3, v27, v2
	v_add_f16_e32 v2, v33, v2
	v_fmamk_f16 v27, v3, 0x3aee, v24
	v_fmac_f16_e32 v24, 0xbaee, v3
	v_sub_f16_e32 v3, v32, v0
	v_add_f16_e32 v0, v34, v0
	s_delay_alu instid0(VALU_DEP_2) | instskip(SKIP_2) | instid1(VALU_DEP_1)
	v_fmamk_f16 v32, v3, 0xbaee, v7
	v_fmac_f16_e32 v7, 0x3aee, v3
	v_mul_f16_e32 v3, 0xbaee, v24
	v_fmac_f16_e32 v3, -0.5, v7
	s_delay_alu instid0(VALU_DEP_1) | instskip(SKIP_3) | instid1(VALU_DEP_2)
	v_add_f16_e32 v35, v1, v3
	v_sub_f16_e32 v1, v1, v3
	v_add_f16_e32 v3, v31, v22
	v_add_f16_e32 v31, v23, v31
	v_fmac_f16_e32 v23, -0.5, v3
	v_sub_f16_e32 v3, v25, v26
	v_add_f16_e32 v25, v29, v26
	s_delay_alu instid0(VALU_DEP_4) | instskip(SKIP_2) | instid1(VALU_DEP_4)
	v_add_f16_e32 v22, v31, v22
	v_mul_f16_e32 v26, 0xbaee, v27
	v_mul_f16_e32 v27, 0.5, v27
	v_add_f16_e32 v29, v25, v2
	s_delay_alu instid0(VALU_DEP_4)
	v_add_f16_e32 v31, v22, v0
	v_sub_f16_e32 v2, v25, v2
	v_sub_f16_e32 v0, v22, v0
	v_fmac_f16_e32 v26, 0.5, v32
	v_fmac_f16_e32 v27, 0x3aee, v32
	v_pack_b32_f16 v29, v29, v31
	v_fmamk_f16 v31, v3, 0x3aee, v23
	v_fmac_f16_e32 v23, 0xbaee, v3
	v_mul_f16_e32 v3, -0.5, v24
	v_pack_b32_f16 v0, v2, v0
	v_add_f16_e32 v32, v30, v26
	v_add_f16_e32 v33, v31, v27
	v_sub_f16_e32 v2, v31, v27
	v_fmac_f16_e32 v3, 0x3aee, v7
	s_delay_alu instid0(VALU_DEP_3) | instskip(NEXT) | instid1(VALU_DEP_2)
	v_pack_b32_f16 v32, v32, v33
	v_add_f16_e32 v7, v23, v3
	v_sub_f16_e32 v3, v23, v3
	ds_store_2addr_b32 v207, v29, v32 offset1:10
	v_pack_b32_f16 v7, v35, v7
	v_pack_b32_f16 v1, v1, v3
	ds_store_2addr_b32 v207, v7, v0 offset0:20 offset1:30
	v_sub_f16_e32 v0, v30, v26
	s_delay_alu instid0(VALU_DEP_1)
	v_pack_b32_f16 v0, v0, v2
	ds_store_2addr_b32 v207, v0, v1 offset0:40 offset1:50
	s_waitcnt lgkmcnt(0)
	s_barrier
	buffer_gl0_inv
	ds_load_2addr_b32 v[0:1], v78 offset0:104 offset1:164
	ds_load_2addr_b32 v[92:93], v76 offset0:144 offset1:204
	s_waitcnt lgkmcnt(1)
	v_lshrrev_b32_e32 v2, 16, v0
	v_lshrrev_b32_e32 v3, 16, v1
	v_mul_f16_e64 v7, v216, v0
	v_mul_f16_e64 v24, v216, v1
	s_delay_alu instid0(VALU_DEP_4) | instskip(NEXT) | instid1(VALU_DEP_4)
	v_mul_f16_e64 v23, v216, v2
	v_mul_f16_e64 v22, v216, v3
	s_delay_alu instid0(VALU_DEP_4) | instskip(NEXT) | instid1(VALU_DEP_4)
	v_fma_f16 v91, v8, v2, -v7
	v_fma_f16 v81, v8, v3, -v24
	s_delay_alu instid0(VALU_DEP_4) | instskip(NEXT) | instid1(VALU_DEP_4)
	v_fmac_f16_e32 v23, v8, v0
	v_fmac_f16_e32 v22, v8, v1
	ds_load_2addr_b32 v[0:1], v77 offset0:80 offset1:140
	s_waitcnt lgkmcnt(0)
	v_lshrrev_b32_e32 v25, 16, v0
	v_lshrrev_b32_e32 v26, 16, v1
	v_mul_f16_e64 v27, v215, v0
	v_mul_f16_e64 v29, v215, v1
	s_delay_alu instid0(VALU_DEP_4) | instskip(NEXT) | instid1(VALU_DEP_4)
	v_mul_f16_e64 v94, v215, v25
	v_mul_f16_e64 v80, v215, v26
	s_delay_alu instid0(VALU_DEP_4) | instskip(NEXT) | instid1(VALU_DEP_4)
	v_fma_f16 v98, v9, v25, -v27
	v_fma_f16 v89, v9, v26, -v29
	s_delay_alu instid0(VALU_DEP_4) | instskip(NEXT) | instid1(VALU_DEP_4)
	v_fmac_f16_e32 v94, v9, v0
	v_fmac_f16_e32 v80, v9, v1
	;; [unrolled: 15-line block ×3, first 2 shown]
	ds_load_2addr_b32 v[0:1], v79 offset0:160 offset1:220
	v_add_f16_e32 v102, v22, v96
	s_waitcnt lgkmcnt(0)
	v_lshrrev_b32_e32 v34, 16, v0
	v_lshrrev_b32_e32 v35, 16, v1
	s_delay_alu instid0(VALU_DEP_2) | instskip(NEXT) | instid1(VALU_DEP_2)
	v_mul_f16_e64 v97, v213, v34
	v_mul_f16_e64 v86, v213, v35
	s_delay_alu instid0(VALU_DEP_2) | instskip(NEXT) | instid1(VALU_DEP_2)
	v_fmac_f16_e32 v97, v11, v0
	v_fmac_f16_e32 v86, v11, v1
	v_mul_f16_e64 v0, v213, v0
	v_mul_f16_e64 v1, v213, v1
	s_delay_alu instid0(VALU_DEP_2) | instskip(NEXT) | instid1(VALU_DEP_2)
	v_fma_f16 v100, v11, v34, -v0
	v_fma_f16 v90, v11, v35, -v1
	ds_load_2addr_b32 v[0:1], v5 offset0:96 offset1:156
	s_waitcnt lgkmcnt(0)
	v_lshrrev_b32_e32 v2, 16, v0
	v_mul_f16_e64 v3, v161, v0
	s_delay_alu instid0(VALU_DEP_2) | instskip(NEXT) | instid1(VALU_DEP_2)
	v_mul_f16_e64 v25, v161, v2
	v_fma_f16 v27, v48, v2, -v3
	ds_load_2addr_b32 v[2:3], v6 offset0:72 offset1:132
	v_fmac_f16_e32 v25, v48, v0
	v_lshrrev_b32_e32 v0, 16, v1
	s_waitcnt lgkmcnt(0)
	v_lshrrev_b32_e32 v7, 16, v2
	v_mul_f16_e64 v8, v149, v2
	s_delay_alu instid0(VALU_DEP_2) | instskip(NEXT) | instid1(VALU_DEP_2)
	v_mul_f16_e64 v82, v149, v7
	v_fma_f16 v83, v49, v7, -v8
	ds_load_2addr_b32 v[7:8], v75 offset0:176 offset1:236
	v_fmac_f16_e32 v82, v49, v2
	v_mul_f16_e64 v2, v168, v1
	s_delay_alu instid0(VALU_DEP_1) | instskip(SKIP_3) | instid1(VALU_DEP_2)
	v_fma_f16 v31, v44, v0, -v2
	s_waitcnt lgkmcnt(0)
	v_lshrrev_b32_e32 v9, 16, v7
	v_mul_f16_e64 v10, v152, v7
	v_mul_f16_e64 v85, v152, v9
	s_delay_alu instid0(VALU_DEP_2) | instskip(SKIP_3) | instid1(VALU_DEP_1)
	v_fma_f16 v84, v50, v9, -v10
	ds_load_2addr_b32 v[9:10], v76 offset0:24 offset1:84
	v_fmac_f16_e32 v85, v50, v7
	v_mul_f16_e64 v7, v168, v0
	v_fmac_f16_e32 v7, v44, v1
	v_lshrrev_b32_e32 v1, 16, v3
	s_delay_alu instid0(VALU_DEP_1) | instskip(SKIP_3) | instid1(VALU_DEP_3)
	v_mul_f16_e64 v34, v166, v1
	s_waitcnt lgkmcnt(0)
	v_lshrrev_b32_e32 v11, 16, v9
	v_mul_f16_e64 v24, v141, v9
	v_fmac_f16_e32 v34, v45, v3
	s_delay_alu instid0(VALU_DEP_3) | instskip(NEXT) | instid1(VALU_DEP_3)
	v_mul_f16_e64 v88, v141, v11
	v_fma_f16 v87, v51, v11, -v24
	v_mul_f16_e64 v11, v165, v8
	v_mul_f16_e64 v24, v158, v10
	s_delay_alu instid0(VALU_DEP_4)
	v_fmac_f16_e32 v88, v51, v9
	v_mul_f16_e64 v9, v166, v3
	v_lshrrev_b32_e32 v3, 16, v8
	ds_load_2addr_b32 v[50:51], v79 offset0:40 offset1:100
	v_fma_f16 v49, v45, v1, -v9
	v_mul_f16_e64 v35, v165, v3
	s_delay_alu instid0(VALU_DEP_1) | instskip(SKIP_2) | instid1(VALU_DEP_2)
	v_fmac_f16_e32 v35, v46, v8
	v_lshrrev_b32_e32 v8, 16, v10
	v_fma_f16 v46, v46, v3, -v11
	v_mul_f16_e64 v48, v158, v8
	s_delay_alu instid0(VALU_DEP_1)
	v_fmac_f16_e32 v48, v47, v10
	v_fma_f16 v47, v47, v8, -v24
	ds_load_2addr_b32 v[8:9], v28 offset0:88 offset1:148
	ds_load_2addr_b32 v[10:11], v6 offset0:192 offset1:252
	s_waitcnt lgkmcnt(1)
	v_lshrrev_b32_e32 v0, 16, v8
	v_mul_f16_e32 v2, v122, v8
	s_waitcnt lgkmcnt(0)
	v_lshrrev_b32_e32 v24, 16, v11
	v_mul_f16_e32 v26, v127, v11
	v_mul_f16_e32 v1, v122, v0
	v_fma_f16 v3, v40, v0, -v2
	v_lshrrev_b32_e32 v0, 16, v10
	v_mul_f16_e64 v2, v159, v10
	s_delay_alu instid0(VALU_DEP_4) | instskip(SKIP_1) | instid1(VALU_DEP_4)
	v_fmac_f16_e32 v1, v40, v8
	v_lshrrev_b32_e32 v40, 16, v51
	v_mul_f16_e64 v29, v159, v0
	s_delay_alu instid0(VALU_DEP_4)
	v_fma_f16 v32, v41, v0, -v2
	v_lshrrev_b32_e32 v0, 16, v50
	v_mul_f16_e32 v2, v70, v50
	v_mul_f16_e32 v8, v127, v24
	v_fmac_f16_e32 v29, v41, v10
	v_mul_f16_e64 v10, v128, v9
	v_mul_f16_e32 v30, v70, v0
	v_fma_f16 v33, v42, v0, -v2
	v_lshrrev_b32_e32 v0, 16, v92
	v_mul_f16_e64 v2, v177, v92
	v_mul_f16_e32 v41, v124, v51
	v_fmac_f16_e32 v8, v37, v11
	v_fma_f16 v24, v37, v24, -v26
	v_mul_f16_e64 v44, v177, v0
	v_fma_f16 v45, v43, v0, -v2
	v_lshrrev_b32_e32 v2, 16, v9
	v_fmac_f16_e32 v30, v42, v50
	v_lshrrev_b32_e32 v42, 16, v93
	v_fmac_f16_e32 v44, v43, v92
	v_mul_f16_e32 v43, v123, v93
	v_mul_f16_e64 v0, v128, v2
	v_fma_f16 v2, v36, v2, -v10
	v_fma_f16 v10, v38, v40, -v41
	v_mul_f16_e32 v11, v123, v42
	v_fma_f16 v26, v39, v42, -v43
	v_fmac_f16_e32 v0, v36, v9
	v_mul_f16_e32 v9, v124, v40
	v_add_f16_e32 v70, v81, v101
	v_fmac_f16_e32 v11, v39, v93
	v_add_f16_e32 v92, v94, v97
	s_delay_alu instid0(VALU_DEP_4)
	v_fmac_f16_e32 v9, v38, v51
	ds_load_2addr_b32 v[37:38], v20 offset0:8 offset1:68
	v_sub_f16_e32 v51, v89, v90
	s_waitcnt lgkmcnt(0)
	v_lshrrev_b32_e32 v39, 16, v37
	v_lshrrev_b32_e32 v40, 16, v38
	v_mul_f16_e64 v41, v208, v37
	v_mul_f16_e64 v42, v208, v38
	s_delay_alu instid0(VALU_DEP_4) | instskip(NEXT) | instid1(VALU_DEP_4)
	v_mul_f16_e64 v43, v208, v39
	v_mul_f16_e64 v36, v208, v40
	s_delay_alu instid0(VALU_DEP_4) | instskip(SKIP_1) | instid1(VALU_DEP_4)
	v_fma_f16 v50, v206, v39, -v41
	v_add_f16_e32 v39, v80, v86
	v_fmac_f16_e64 v43, v206, v37
	v_fma_f16 v37, v206, v40, -v42
	ds_load_2addr_b32 v[41:42], v115 offset1:60
	v_fmac_f16_e64 v36, v206, v38
	v_sub_f16_e32 v108, v95, v43
	s_waitcnt lgkmcnt(0)
	v_lshrrev_b32_e32 v38, 16, v42
	v_add_f16_e32 v40, v42, v80
	v_fmac_f16_e32 v42, -0.5, v39
	v_fma_f16 v103, -0.5, v92, v41
	v_lshrrev_b32_e32 v106, 16, v41
	v_add_f16_e32 v41, v41, v94
	s_delay_alu instid0(VALU_DEP_4) | instskip(SKIP_2) | instid1(VALU_DEP_4)
	v_fmamk_f16 v39, v51, 0xbaee, v42
	v_fmac_f16_e32 v42, 0x3aee, v51
	v_add_f16_e32 v51, v101, v37
	v_add_f16_e32 v107, v41, v97
	;; [unrolled: 1-line block ×3, first 2 shown]
	v_sub_f16_e32 v97, v94, v97
	s_delay_alu instid0(VALU_DEP_4) | instskip(SKIP_1) | instid1(VALU_DEP_1)
	v_fmac_f16_e32 v81, -0.5, v51
	v_add_f16_e32 v51, v96, v36
	v_fmac_f16_e32 v22, -0.5, v51
	v_sub_f16_e32 v51, v96, v36
	v_add_f16_e32 v36, v102, v36
	s_delay_alu instid0(VALU_DEP_2) | instskip(SKIP_3) | instid1(VALU_DEP_4)
	v_fmamk_f16 v96, v51, 0x3aee, v81
	v_fmac_f16_e32 v81, 0xbaee, v51
	v_sub_f16_e32 v51, v101, v37
	v_add_f16_e32 v37, v70, v37
	v_mul_f16_e32 v70, 0xbaee, v96
	s_delay_alu instid0(VALU_DEP_3) | instskip(SKIP_2) | instid1(VALU_DEP_3)
	v_fmamk_f16 v101, v51, 0xbaee, v22
	v_fmac_f16_e32 v22, 0x3aee, v51
	v_mul_f16_e32 v51, 0xbaee, v81
	v_fmac_f16_e32 v70, 0.5, v101
	s_delay_alu instid0(VALU_DEP_2) | instskip(NEXT) | instid1(VALU_DEP_1)
	v_fmac_f16_e32 v51, -0.5, v22
	v_add_f16_e32 v104, v42, v51
	v_sub_f16_e32 v105, v42, v51
	v_add_f16_e32 v42, v98, v100
	v_add_f16_e32 v51, v106, v98
	v_sub_f16_e32 v98, v98, v100
	s_delay_alu instid0(VALU_DEP_3)
	v_fmac_f16_e32 v106, -0.5, v42
	v_add_f16_e32 v42, v91, v99
	v_fmac_f16_e32 v91, -0.5, v41
	v_add_f16_e32 v41, v95, v43
	v_add_f16_e32 v100, v51, v100
	;; [unrolled: 1-line block ×3, first 2 shown]
	v_sub_f16_e32 v99, v99, v50
	v_add_f16_e32 v109, v42, v50
	v_fmac_f16_e32 v23, -0.5, v41
	v_fmamk_f16 v41, v108, 0x3aee, v91
	v_fmac_f16_e32 v91, 0xbaee, v108
	v_add_f16_e32 v43, v51, v43
	v_fmamk_f16 v114, v97, 0x3aee, v106
	v_fmac_f16_e32 v106, 0xbaee, v97
	v_mul_f16_e32 v110, 0xbaee, v41
	v_mul_f16_e32 v111, 0.5, v41
	v_fmamk_f16 v41, v99, 0xbaee, v23
	v_fmac_f16_e32 v23, 0x3aee, v99
	v_mul_f16_e32 v97, 0xbaee, v91
	v_mul_f16_e32 v91, -0.5, v91
	v_add_f16_e32 v42, v100, v109
	v_fmac_f16_e32 v110, 0.5, v41
	v_fmac_f16_e32 v111, 0x3aee, v41
	v_add_f16_e32 v41, v107, v43
	v_fmamk_f16 v113, v98, 0xbaee, v103
	v_fmac_f16_e32 v103, 0x3aee, v98
	v_fmac_f16_e32 v97, -0.5, v23
	v_fmac_f16_e32 v91, 0x3aee, v23
	v_pack_b32_f16 v112, v41, v42
	v_add_f16_e32 v41, v113, v110
	v_add_f16_e32 v42, v114, v111
	v_sub_f16_e32 v23, v107, v43
	v_sub_f16_e32 v43, v100, v109
	v_add_f16_e32 v98, v103, v97
	v_add_f16_e32 v99, v106, v91
	v_pack_b32_f16 v117, v41, v42
	ds_load_2addr_b32 v[41:42], v115 offset0:120 offset1:180
	ds_load_2addr_b32 v[50:51], v20 offset0:128 offset1:188
	;; [unrolled: 1-line block ×4, first 2 shown]
	v_pack_b32_f16 v23, v23, v43
	s_waitcnt lgkmcnt(0)
	v_pack_b32_f16 v98, v98, v99
	s_barrier
	buffer_gl0_inv
	ds_store_2addr_b32 v115, v112, v117 offset1:60
	v_sub_f16_e32 v43, v103, v97
	ds_store_2addr_b32 v115, v98, v23 offset0:120 offset1:180
	v_sub_f16_e32 v23, v113, v110
	v_sub_f16_e32 v97, v114, v111
	;; [unrolled: 1-line block ×3, first 2 shown]
	s_delay_alu instid0(VALU_DEP_2) | instskip(NEXT) | instid1(VALU_DEP_2)
	v_pack_b32_f16 v23, v23, v97
	v_pack_b32_f16 v43, v43, v91
	ds_store_2addr_b32 v4, v23, v43 offset0:112 offset1:172
	v_add_f16_e32 v23, v89, v90
	v_add_f16_e32 v43, v38, v89
	s_delay_alu instid0(VALU_DEP_2) | instskip(SKIP_1) | instid1(VALU_DEP_3)
	v_fmac_f16_e32 v38, -0.5, v23
	v_add_f16_e32 v23, v40, v86
	v_add_f16_e32 v43, v43, v90
	v_sub_f16_e32 v40, v80, v86
	v_mul_f16_e32 v80, 0.5, v96
	v_add_f16_e32 v90, v39, v70
	v_add_f16_e32 v86, v23, v36
	;; [unrolled: 1-line block ×3, first 2 shown]
	s_delay_alu instid0(VALU_DEP_4) | instskip(NEXT) | instid1(VALU_DEP_2)
	v_fmac_f16_e32 v80, 0x3aee, v101
	v_pack_b32_f16 v86, v86, v89
	v_fmamk_f16 v89, v40, 0x3aee, v38
	v_fmac_f16_e32 v38, 0xbaee, v40
	v_mul_f16_e32 v40, -0.5, v81
	s_delay_alu instid0(VALU_DEP_3) | instskip(NEXT) | instid1(VALU_DEP_2)
	v_add_f16_e32 v91, v89, v80
	v_fmac_f16_e32 v40, 0x3aee, v22
	v_sub_f16_e32 v22, v23, v36
	v_sub_f16_e32 v23, v43, v37
	s_delay_alu instid0(VALU_DEP_4)
	v_pack_b32_f16 v90, v90, v91
	v_add_f16_e32 v37, v83, v87
	v_add_f16_e32 v36, v38, v40
	v_sub_f16_e32 v43, v83, v87
	v_pack_b32_f16 v22, v22, v23
	ds_store_2addr_b32 v78, v86, v90 offset0:104 offset1:164
	scratch_load_b32 v86, off, off offset:184 ; 4-byte Folded Reload
	v_pack_b32_f16 v36, v104, v36
	v_sub_f16_e32 v23, v89, v80
	v_add_f16_e32 v80, v25, v85
	ds_store_2addr_b32 v5, v36, v22 offset0:96 offset1:156
	v_sub_f16_e32 v22, v39, v70
	v_sub_f16_e32 v36, v38, v40
	v_add_f16_e32 v70, v27, v84
	v_add_f16_e32 v39, v82, v88
	v_sub_f16_e32 v40, v82, v88
	v_pack_b32_f16 v22, v22, v23
	v_pack_b32_f16 v23, v105, v36
	v_lshrrev_b32_e32 v36, 16, v202
	v_fma_f16 v39, -0.5, v39, v41
	ds_store_2addr_b32 v28, v22, v23 offset0:88 offset1:148
	v_lshrrev_b32_e32 v22, 16, v50
	v_mul_f16_e32 v23, v36, v50
	s_delay_alu instid0(VALU_DEP_2) | instskip(NEXT) | instid1(VALU_DEP_2)
	v_mul_f16_e32 v36, v36, v22
	v_fma_f16 v22, v202, v22, -v23
	v_lshrrev_b32_e32 v23, 16, v41
	s_delay_alu instid0(VALU_DEP_3) | instskip(NEXT) | instid1(VALU_DEP_3)
	v_fmac_f16_e64 v36, v202, v50
	v_add_f16_e32 v50, v84, v22
	s_delay_alu instid0(VALU_DEP_3)
	v_add_f16_e32 v38, v23, v83
	v_fmac_f16_e32 v23, -0.5, v37
	v_add_f16_e32 v37, v41, v82
	v_fmamk_f16 v41, v43, 0xbaee, v39
	v_fmac_f16_e32 v27, -0.5, v50
	v_add_f16_e32 v50, v85, v36
	v_add_f16_e32 v38, v38, v87
	;; [unrolled: 1-line block ×3, first 2 shown]
	v_fmac_f16_e32 v39, 0x3aee, v43
	s_delay_alu instid0(VALU_DEP_4) | instskip(SKIP_4) | instid1(VALU_DEP_4)
	v_fmac_f16_e32 v25, -0.5, v50
	v_sub_f16_e32 v50, v85, v36
	v_add_f16_e32 v36, v80, v36
	v_sub_f16_e32 v80, v84, v22
	v_add_f16_e32 v22, v70, v22
	v_fmamk_f16 v70, v50, 0x3aee, v27
	v_fmac_f16_e32 v27, 0xbaee, v50
	s_delay_alu instid0(VALU_DEP_4) | instskip(NEXT) | instid1(VALU_DEP_4)
	v_fmamk_f16 v82, v80, 0xbaee, v25
	v_add_f16_e32 v83, v38, v22
	v_fmac_f16_e32 v25, 0x3aee, v80
	v_mul_f16_e32 v81, 0xbaee, v70
	v_mul_f16_e32 v70, 0.5, v70
	v_sub_f16_e32 v22, v38, v22
	s_delay_alu instid0(VALU_DEP_3) | instskip(NEXT) | instid1(VALU_DEP_3)
	v_fmac_f16_e32 v81, 0.5, v82
	v_fmac_f16_e32 v70, 0x3aee, v82
	v_add_f16_e32 v82, v37, v36
	s_delay_alu instid0(VALU_DEP_3) | instskip(NEXT) | instid1(VALU_DEP_2)
	v_add_f16_e32 v84, v41, v81
	v_pack_b32_f16 v82, v82, v83
	v_fmamk_f16 v83, v40, 0x3aee, v23
	v_fmac_f16_e32 v23, 0xbaee, v40
	v_mul_f16_e32 v40, 0xbaee, v27
	v_mul_f16_e32 v27, -0.5, v27
	s_delay_alu instid0(VALU_DEP_4) | instskip(NEXT) | instid1(VALU_DEP_3)
	v_add_f16_e32 v85, v83, v70
	v_fmac_f16_e32 v40, -0.5, v25
	s_delay_alu instid0(VALU_DEP_3) | instskip(SKIP_1) | instid1(VALU_DEP_4)
	v_fmac_f16_e32 v27, 0x3aee, v25
	v_sub_f16_e32 v25, v37, v36
	v_pack_b32_f16 v84, v84, v85
	s_delay_alu instid0(VALU_DEP_4) | instskip(NEXT) | instid1(VALU_DEP_4)
	v_add_f16_e32 v36, v39, v40
	v_add_f16_e32 v37, v23, v27
	s_delay_alu instid0(VALU_DEP_4) | instskip(SKIP_2) | instid1(VALU_DEP_4)
	v_pack_b32_f16 v22, v25, v22
	v_sub_f16_e32 v23, v23, v27
	v_lshrrev_b32_e32 v27, 16, v42
	v_pack_b32_f16 v36, v36, v37
	v_sub_f16_e32 v37, v83, v70
	s_waitcnt vmcnt(0)
	v_add_nc_u32_e32 v25, 0xc00, v86
	v_add_nc_u32_e32 v85, 0xa00, v86
	ds_store_2addr_b32 v25, v36, v22 offset0:72 offset1:132
	v_sub_f16_e32 v22, v41, v81
	v_sub_f16_e32 v36, v39, v40
	v_add_f16_e32 v39, v31, v46
	v_add_f16_e32 v40, v7, v35
	ds_store_2addr_b32 v85, v82, v84 offset0:80 offset1:140
	v_pack_b32_f16 v22, v22, v37
	v_pack_b32_f16 v23, v36, v23
	v_add_f16_e32 v36, v42, v34
	v_add_f16_e32 v37, v27, v49
	ds_store_2addr_b32 v25, v22, v23 offset0:192 offset1:252
	v_lshrrev_b32_e32 v22, 16, v51
	v_lshrrev_b32_e32 v25, 16, v196
	v_add_f16_e32 v37, v37, v47
	s_delay_alu instid0(VALU_DEP_2) | instskip(SKIP_1) | instid1(VALU_DEP_2)
	v_mul_f16_e32 v23, v25, v22
	v_mul_f16_e32 v25, v25, v51
	v_fmac_f16_e64 v23, v196, v51
	s_delay_alu instid0(VALU_DEP_2) | instskip(SKIP_2) | instid1(VALU_DEP_3)
	v_fma_f16 v22, v196, v22, -v25
	v_add_f16_e32 v25, v34, v48
	v_sub_f16_e32 v34, v34, v48
	v_add_f16_e32 v38, v46, v22
	s_delay_alu instid0(VALU_DEP_3) | instskip(SKIP_1) | instid1(VALU_DEP_3)
	v_fmac_f16_e32 v42, -0.5, v25
	v_add_f16_e32 v25, v49, v47
	v_fmac_f16_e32 v31, -0.5, v38
	v_add_f16_e32 v38, v35, v23
	s_delay_alu instid0(VALU_DEP_3)
	v_fmac_f16_e32 v27, -0.5, v25
	v_add_f16_e32 v25, v36, v48
	v_sub_f16_e32 v36, v49, v47
	scratch_load_b32 v49, off, off offset:188 ; 4-byte Folded Reload
	v_sub_f16_e32 v35, v35, v23
	v_fmac_f16_e32 v7, -0.5, v38
	v_sub_f16_e32 v38, v46, v22
	v_add_f16_e32 v22, v39, v22
	v_add_f16_e32 v23, v40, v23
	v_fmamk_f16 v39, v35, 0x3aee, v31
	v_fmamk_f16 v46, v34, 0x3aee, v27
	v_fmamk_f16 v41, v38, 0xbaee, v7
	v_add_f16_e32 v43, v37, v22
	v_fmac_f16_e32 v31, 0xbaee, v35
	v_mul_f16_e32 v40, 0xbaee, v39
	v_mul_f16_e32 v39, 0.5, v39
	v_fmac_f16_e32 v27, 0xbaee, v34
	v_fmac_f16_e32 v7, 0x3aee, v38
	v_mul_f16_e32 v34, 0xbaee, v31
	v_fmac_f16_e32 v40, 0.5, v41
	v_fmac_f16_e32 v39, 0x3aee, v41
	v_add_f16_e32 v41, v25, v23
	v_mul_f16_e32 v31, -0.5, v31
	v_fmac_f16_e32 v34, -0.5, v7
	v_sub_f16_e32 v22, v37, v22
	v_add_f16_e32 v48, v46, v39
	v_pack_b32_f16 v41, v41, v43
	v_fmamk_f16 v43, v36, 0xbaee, v42
	v_fmac_f16_e32 v42, 0x3aee, v36
	v_fmac_f16_e32 v31, 0x3aee, v7
	v_sub_f16_e32 v7, v25, v23
	v_add_f16_e32 v35, v3, v33
	v_add_f16_e32 v47, v43, v40
	;; [unrolled: 1-line block ×4, first 2 shown]
	v_pack_b32_f16 v7, v7, v22
	v_sub_f16_e32 v22, v43, v40
	v_pack_b32_f16 v47, v47, v48
	v_add_f16_e32 v36, v1, v30
	v_pack_b32_f16 v23, v23, v25
	v_sub_f16_e32 v25, v27, v31
	v_add_f16_e32 v31, v29, v44
	s_delay_alu instid0(VALU_DEP_1)
	v_fma_f16 v31, -0.5, v31, v92
	s_waitcnt vmcnt(0)
	v_add_nc_u32_e32 v48, 0x1000, v49
	ds_store_2addr_b32 v48, v41, v47 offset0:56 offset1:116
	scratch_load_b32 v41, off, off offset:192 ; 4-byte Folded Reload
	ds_store_2addr_b32 v48, v23, v7 offset0:176 offset1:236
	v_sub_f16_e32 v7, v42, v34
	v_sub_f16_e32 v23, v46, v39
	s_delay_alu instid0(VALU_DEP_2) | instskip(NEXT) | instid1(VALU_DEP_2)
	v_pack_b32_f16 v7, v7, v25
	v_pack_b32_f16 v22, v22, v23
	v_add_nc_u32_e32 v23, 0x1400, v49
	v_add_f16_e32 v25, v32, v45
	ds_store_2addr_b32 v23, v22, v7 offset0:40 offset1:100
	v_lshrrev_b32_e32 v23, 16, v192
	v_lshrrev_b32_e32 v7, 16, v94
	s_delay_alu instid0(VALU_DEP_2) | instskip(NEXT) | instid1(VALU_DEP_2)
	v_mul_f16_e32 v22, v23, v94
	v_mul_f16_e32 v23, v23, v7
	s_delay_alu instid0(VALU_DEP_2) | instskip(NEXT) | instid1(VALU_DEP_2)
	v_fma_f16 v7, v192, v7, -v22
	v_fmac_f16_e64 v23, v192, v94
	v_lshrrev_b32_e32 v22, 16, v92
	s_delay_alu instid0(VALU_DEP_3) | instskip(SKIP_1) | instid1(VALU_DEP_3)
	v_add_f16_e32 v34, v33, v7
	v_sub_f16_e32 v33, v33, v7
	v_add_f16_e32 v27, v22, v32
	v_fmac_f16_e32 v22, -0.5, v25
	v_add_f16_e32 v25, v92, v29
	v_fmac_f16_e32 v3, -0.5, v34
	v_add_f16_e32 v34, v30, v23
	v_sub_f16_e32 v30, v30, v23
	v_add_f16_e32 v27, v27, v45
	v_add_f16_e32 v25, v25, v44
	;; [unrolled: 1-line block ×3, first 2 shown]
	v_fmac_f16_e32 v1, -0.5, v34
	v_fmamk_f16 v34, v30, 0x3aee, v3
	v_add_f16_e32 v7, v35, v7
	v_sub_f16_e32 v32, v32, v45
	v_sub_f16_e32 v29, v29, v44
	v_fmamk_f16 v36, v33, 0xbaee, v1
	v_mul_f16_e32 v35, 0xbaee, v34
	v_mul_f16_e32 v34, 0.5, v34
	v_add_f16_e32 v37, v27, v7
	v_fmac_f16_e32 v3, 0xbaee, v30
	v_fmamk_f16 v38, v29, 0x3aee, v22
	v_fmac_f16_e32 v35, 0.5, v36
	v_fmac_f16_e32 v34, 0x3aee, v36
	v_add_f16_e32 v36, v25, v23
	v_fmac_f16_e32 v22, 0xbaee, v29
	v_fmac_f16_e32 v1, 0x3aee, v33
	v_mul_f16_e32 v29, 0xbaee, v3
	v_mul_f16_e32 v3, -0.5, v3
	v_pack_b32_f16 v36, v36, v37
	v_fmamk_f16 v37, v32, 0xbaee, v31
	v_fmac_f16_e32 v31, 0x3aee, v32
	scratch_load_b32 v32, off, off offset:196 ; 4-byte Folded Reload
	v_fmac_f16_e32 v29, -0.5, v1
	v_fmac_f16_e32 v3, 0x3aee, v1
	v_sub_f16_e32 v1, v25, v23
	v_sub_f16_e32 v7, v27, v7
	v_add_f16_e32 v39, v37, v35
	v_add_f16_e32 v23, v31, v29
	;; [unrolled: 1-line block ×3, first 2 shown]
	v_sub_f16_e32 v3, v22, v3
	v_pack_b32_f16 v1, v1, v7
	v_lshrrev_b32_e32 v22, 16, v93
	v_add_f16_e32 v40, v38, v34
	v_pack_b32_f16 v23, v23, v25
	v_sub_f16_e32 v25, v38, v34
	s_delay_alu instid0(VALU_DEP_3)
	v_pack_b32_f16 v39, v39, v40
	s_waitcnt vmcnt(1)
	v_add_nc_u32_e32 v7, 0x1800, v41
	v_add_nc_u32_e32 v40, 0x1400, v41
	ds_store_2addr_b32 v7, v23, v1 offset0:24 offset1:84
	v_sub_f16_e32 v1, v37, v35
	v_sub_f16_e32 v23, v31, v29
	ds_store_2addr_b32 v40, v36, v39 offset0:160 offset1:220
	v_pack_b32_f16 v1, v1, v25
	v_pack_b32_f16 v3, v23, v3
	v_add_f16_e32 v23, v93, v8
	v_add_f16_e32 v25, v22, v24
	ds_store_2addr_b32 v7, v1, v3 offset0:144 offset1:204
	v_lshrrev_b32_e32 v1, 16, v95
	v_lshrrev_b32_e32 v7, 16, v189
	s_delay_alu instid0(VALU_DEP_1) | instskip(SKIP_1) | instid1(VALU_DEP_2)
	v_mul_f16_e32 v3, v7, v1
	v_mul_f16_e32 v7, v7, v95
	v_fmac_f16_e64 v3, v189, v95
	s_delay_alu instid0(VALU_DEP_2) | instskip(SKIP_2) | instid1(VALU_DEP_2)
	v_fma_f16 v1, v189, v1, -v7
	v_add_f16_e32 v7, v8, v11
	v_sub_f16_e32 v8, v8, v11
	v_fmac_f16_e32 v93, -0.5, v7
	v_add_f16_e32 v7, v24, v26
	s_delay_alu instid0(VALU_DEP_1)
	v_fmac_f16_e32 v22, -0.5, v7
	v_add_f16_e32 v7, v23, v11
	v_sub_f16_e32 v11, v24, v26
	v_add_f16_e32 v24, v10, v1
	v_add_f16_e32 v23, v25, v26
	;; [unrolled: 1-line block ×4, first 2 shown]
	v_sub_f16_e32 v10, v10, v1
	v_fmac_f16_e32 v2, -0.5, v24
	v_add_f16_e32 v24, v9, v3
	v_sub_f16_e32 v9, v9, v3
	v_add_f16_e32 v3, v26, v3
	v_add_f16_e32 v1, v25, v1
	v_fmamk_f16 v29, v8, 0x3aee, v22
	v_fmac_f16_e32 v0, -0.5, v24
	v_fmamk_f16 v24, v9, 0x3aee, v2
	v_fmac_f16_e32 v2, 0xbaee, v9
	v_add_f16_e32 v27, v23, v1
	v_fmac_f16_e32 v22, 0xbaee, v8
	v_fmamk_f16 v26, v10, 0xbaee, v0
	v_mul_f16_e32 v25, 0xbaee, v24
	v_mul_f16_e32 v24, 0.5, v24
	v_fmac_f16_e32 v0, 0x3aee, v10
	v_mul_f16_e32 v8, 0xbaee, v2
	v_mul_f16_e32 v2, -0.5, v2
	v_fmac_f16_e32 v25, 0.5, v26
	v_fmac_f16_e32 v24, 0x3aee, v26
	v_add_f16_e32 v26, v7, v3
	v_fmac_f16_e32 v8, -0.5, v0
	v_fmac_f16_e32 v2, 0x3aee, v0
	v_sub_f16_e32 v0, v7, v3
	v_add_f16_e32 v31, v29, v24
	v_pack_b32_f16 v26, v26, v27
	v_fmamk_f16 v27, v11, 0xbaee, v93
	v_fmac_f16_e32 v93, 0x3aee, v11
	v_sub_f16_e32 v1, v23, v1
	v_add_f16_e32 v7, v22, v2
	v_sub_f16_e32 v2, v22, v2
	v_add_f16_e32 v30, v27, v25
	v_add_f16_e32 v3, v93, v8
	v_pack_b32_f16 v0, v0, v1
	v_sub_f16_e32 v1, v27, v25
	s_delay_alu instid0(VALU_DEP_4)
	v_pack_b32_f16 v30, v30, v31
	s_waitcnt vmcnt(0)
	v_add_nc_u32_e32 v31, 0x1c00, v32
	v_pack_b32_f16 v3, v3, v7
	v_lshrrev_b32_e32 v7, 16, v12
	ds_store_2addr_b32 v31, v26, v30 offset0:8 offset1:68
	ds_store_2addr_b32 v31, v3, v0 offset0:128 offset1:188
	v_sub_f16_e32 v0, v93, v8
	v_sub_f16_e32 v3, v29, v24
	s_delay_alu instid0(VALU_DEP_2) | instskip(NEXT) | instid1(VALU_DEP_2)
	v_pack_b32_f16 v0, v0, v2
	v_pack_b32_f16 v1, v1, v3
	v_add_nc_u32_e32 v2, 0x1e00, v32
	ds_store_2addr_b32 v2, v1, v0 offset0:120 offset1:180
	s_waitcnt lgkmcnt(0)
	s_barrier
	buffer_gl0_inv
	ds_load_2addr_b32 v[0:1], v78 offset0:104 offset1:164
	ds_load_2addr_b32 v[47:48], v79 offset0:40 offset1:100
	;; [unrolled: 1-line block ×3, first 2 shown]
	s_waitcnt lgkmcnt(2)
	v_lshrrev_b32_e32 v2, 16, v0
	v_mul_f16_e32 v3, v7, v0
	s_waitcnt lgkmcnt(1)
	v_lshrrev_b32_e32 v38, 16, v48
	s_delay_alu instid0(VALU_DEP_3) | instskip(NEXT) | instid1(VALU_DEP_3)
	v_mul_f16_e32 v51, v7, v2
	v_fma_f16 v70, v12, v2, -v3
	ds_load_2addr_b32 v[2:3], v77 offset0:80 offset1:140
	v_mul_f16_e64 v35, v175, v38
	v_fmac_f16_e32 v51, v12, v0
	v_lshrrev_b32_e32 v0, 16, v1
	s_delay_alu instid0(VALU_DEP_3) | instskip(NEXT) | instid1(VALU_DEP_2)
	v_fmac_f16_e32 v35, v62, v48
	v_mul_f16_e64 v27, v238, v0
	s_delay_alu instid0(VALU_DEP_1) | instskip(SKIP_3) | instid1(VALU_DEP_2)
	v_fmac_f16_e32 v27, v16, v1
	s_waitcnt lgkmcnt(0)
	v_lshrrev_b32_e32 v7, 16, v2
	v_mul_f16_e64 v8, v248, v2
	v_mul_f16_e64 v80, v248, v7
	s_delay_alu instid0(VALU_DEP_2) | instskip(SKIP_4) | instid1(VALU_DEP_2)
	v_fma_f16 v81, v13, v7, -v8
	ds_load_2addr_b32 v[7:8], v75 offset0:56 offset1:116
	v_fmac_f16_e32 v80, v13, v2
	v_mul_f16_e64 v2, v238, v1
	v_lshrrev_b32_e32 v1, 16, v3
	v_fma_f16 v31, v16, v0, -v2
	s_delay_alu instid0(VALU_DEP_2) | instskip(NEXT) | instid1(VALU_DEP_1)
	v_mul_f16_e64 v37, v239, v1
	v_fmac_f16_e32 v37, v17, v3
	s_waitcnt lgkmcnt(0)
	v_lshrrev_b32_e32 v9, 16, v7
	v_mul_f16_e64 v10, v249, v7
	s_delay_alu instid0(VALU_DEP_2) | instskip(NEXT) | instid1(VALU_DEP_2)
	v_mul_f16_e64 v82, v249, v9
	v_fma_f16 v83, v14, v9, -v10
	ds_load_2addr_b32 v[9:10], v79 offset0:160 offset1:220
	v_fmac_f16_e32 v82, v14, v7
	v_mul_f16_e64 v7, v239, v3
	v_lshrrev_b32_e32 v3, 16, v8
	s_delay_alu instid0(VALU_DEP_2) | instskip(SKIP_2) | instid1(VALU_DEP_1)
	v_fma_f16 v43, v17, v1, -v7
	ds_load_2addr_b32 v[0:1], v5 offset0:96 offset1:156
	v_mul_f16_e64 v39, v241, v3
	v_fmac_f16_e32 v39, v18, v8
	s_waitcnt lgkmcnt(1)
	v_lshrrev_b32_e32 v11, 16, v9
	v_mul_f16_e64 v22, v250, v9
	s_delay_alu instid0(VALU_DEP_2) | instskip(NEXT) | instid1(VALU_DEP_2)
	v_mul_f16_e64 v84, v250, v11
	v_fma_f16 v85, v15, v11, -v22
	v_mul_f16_e64 v11, v242, v10
	s_delay_alu instid0(VALU_DEP_3) | instskip(SKIP_4) | instid1(VALU_DEP_3)
	v_fmac_f16_e32 v84, v15, v9
	v_mul_f16_e64 v9, v241, v8
	s_waitcnt lgkmcnt(0)
	v_lshrrev_b32_e32 v2, 16, v0
	v_lshrrev_b32_e32 v8, 16, v10
	v_fma_f16 v42, v18, v3, -v9
	v_mul_f16_e64 v3, v154, v0
	s_delay_alu instid0(VALU_DEP_4) | instskip(NEXT) | instid1(VALU_DEP_4)
	v_mul_f16_e64 v32, v154, v2
	v_mul_f16_e64 v40, v242, v8
	v_fma_f16 v44, v19, v8, -v11
	s_delay_alu instid0(VALU_DEP_4)
	v_fma_f16 v33, v56, v2, -v3
	ds_load_2addr_b32 v[2:3], v6 offset0:72 offset1:132
	v_fmac_f16_e32 v40, v19, v10
	ds_load_2addr_b32 v[10:11], v76 offset0:24 offset1:84
	v_fmac_f16_e32 v32, v56, v0
	v_lshrrev_b32_e32 v0, 16, v1
	v_sub_f16_e32 v56, v80, v84
	s_waitcnt lgkmcnt(1)
	v_lshrrev_b32_e32 v5, 16, v2
	v_mul_f16_e64 v7, v155, v2
	s_delay_alu instid0(VALU_DEP_2) | instskip(NEXT) | instid1(VALU_DEP_2)
	v_mul_f16_e64 v30, v155, v5
	v_fma_f16 v41, v57, v5, -v7
	ds_load_2addr_b32 v[7:8], v75 offset0:176 offset1:236
	v_fmac_f16_e32 v30, v57, v2
	v_mul_f16_e64 v2, v140, v1
	s_waitcnt lgkmcnt(0)
	v_lshrrev_b32_e32 v5, 16, v7
	v_mul_f16_e64 v9, v156, v7
	s_delay_alu instid0(VALU_DEP_2) | instskip(NEXT) | instid1(VALU_DEP_2)
	v_mul_f16_e64 v45, v156, v5
	v_fma_f16 v46, v58, v5, -v9
	v_lshrrev_b32_e32 v5, 16, v10
	v_mul_f16_e64 v9, v157, v10
	s_delay_alu instid0(VALU_DEP_4) | instskip(SKIP_1) | instid1(VALU_DEP_4)
	v_fmac_f16_e32 v45, v58, v7
	v_mul_f16_e64 v7, v145, v8
	v_mul_f16_e64 v34, v157, v5
	s_delay_alu instid0(VALU_DEP_4)
	v_fma_f16 v36, v59, v5, -v9
	v_mul_f16_e64 v5, v143, v3
	v_mul_f16_e64 v9, v147, v11
	v_add_f16_e32 v58, v70, v83
	v_fmac_f16_e32 v34, v59, v10
	v_mul_f16_e64 v10, v140, v0
	v_add_f16_e32 v59, v51, v82
	s_delay_alu instid0(VALU_DEP_2) | instskip(SKIP_1) | instid1(VALU_DEP_1)
	v_fmac_f16_e32 v10, v52, v1
	v_lshrrev_b32_e32 v1, 16, v3
	v_mul_f16_e64 v12, v143, v1
	v_fma_f16 v16, v53, v1, -v5
	s_delay_alu instid0(VALU_DEP_2) | instskip(SKIP_2) | instid1(VALU_DEP_2)
	v_fmac_f16_e32 v12, v53, v3
	v_lshrrev_b32_e32 v3, 16, v8
	v_add_f16_e32 v53, v81, v85
	v_mul_f16_e64 v19, v145, v3
	v_fma_f16 v25, v54, v3, -v7
	s_delay_alu instid0(VALU_DEP_2) | instskip(SKIP_1) | instid1(VALU_DEP_1)
	v_fmac_f16_e32 v19, v54, v8
	v_lshrrev_b32_e32 v8, 16, v11
	v_mul_f16_e64 v15, v147, v8
	v_fma_f16 v17, v55, v8, -v9
	ds_load_2addr_b32 v[7:8], v6 offset0:192 offset1:252
	v_fmac_f16_e32 v15, v55, v11
	v_fma_f16 v11, v52, v0, -v2
	ds_load_2addr_b32 v[0:1], v28 offset0:88 offset1:148
	v_add_f16_e32 v55, v80, v84
	s_waitcnt lgkmcnt(1)
	v_mul_f16_e64 v9, v171, v8
	s_waitcnt lgkmcnt(0)
	v_lshrrev_b32_e32 v2, 16, v0
	v_mul_f16_e32 v3, v71, v0
	s_delay_alu instid0(VALU_DEP_2) | instskip(NEXT) | instid1(VALU_DEP_2)
	v_mul_f16_e32 v13, v71, v2
	v_fma_f16 v14, v64, v2, -v3
	v_lshrrev_b32_e32 v2, 16, v7
	v_mul_f16_e32 v3, v116, v7
	s_delay_alu instid0(VALU_DEP_4) | instskip(SKIP_1) | instid1(VALU_DEP_4)
	v_fmac_f16_e32 v13, v64, v0
	v_lshrrev_b32_e32 v0, 16, v1
	v_mul_f16_e32 v18, v116, v2
	s_delay_alu instid0(VALU_DEP_4) | instskip(SKIP_2) | instid1(VALU_DEP_4)
	v_fma_f16 v22, v65, v2, -v3
	v_lshrrev_b32_e32 v2, 16, v47
	v_mul_f16_e32 v3, v118, v47
	v_fmac_f16_e32 v18, v65, v7
	v_mul_f16_e64 v7, v170, v1
	s_delay_alu instid0(VALU_DEP_4) | instskip(NEXT) | instid1(VALU_DEP_4)
	v_mul_f16_e32 v23, v118, v2
	v_fma_f16 v24, v66, v2, -v3
	v_lshrrev_b32_e32 v2, 16, v49
	v_mul_f16_e32 v3, v120, v49
	v_fma_f16 v7, v60, v0, -v7
	v_fmac_f16_e32 v23, v66, v47
	v_mul_f16_e64 v47, v175, v48
	v_mul_f16_e32 v26, v120, v2
	v_fma_f16 v29, v67, v2, -v3
	v_mul_f16_e64 v2, v170, v0
	v_lshrrev_b32_e32 v48, 16, v50
	v_fma_f16 v38, v62, v38, -v47
	v_fmac_f16_e32 v26, v67, v49
	v_mul_f16_e64 v49, v178, v50
	v_fmac_f16_e32 v2, v60, v1
	v_lshrrev_b32_e32 v1, 16, v8
	v_mul_f16_e64 v5, v178, v48
	v_sub_f16_e32 v67, v30, v34
	s_delay_alu instid0(VALU_DEP_3) | instskip(NEXT) | instid1(VALU_DEP_3)
	v_mul_f16_e64 v3, v171, v1
	v_fmac_f16_e32 v5, v63, v50
	s_delay_alu instid0(VALU_DEP_2)
	v_fmac_f16_e32 v3, v61, v8
	v_fma_f16 v8, v61, v1, -v9
	ds_load_2addr_b32 v[0:1], v20 offset0:8 offset1:68
	v_fma_f16 v9, v63, v48, -v49
	v_lshrrev_b32_e32 v49, 16, v209
	s_waitcnt lgkmcnt(0)
	v_lshrrev_b32_e32 v47, 16, v0
	s_delay_alu instid0(VALU_DEP_2) | instskip(NEXT) | instid1(VALU_DEP_2)
	v_mul_f16_e32 v48, v49, v0
	v_mul_f16_e32 v49, v49, v47
	s_delay_alu instid0(VALU_DEP_2) | instskip(SKIP_1) | instid1(VALU_DEP_3)
	v_fma_f16 v50, v209, v47, -v48
	v_lshrrev_b32_e32 v47, 16, v211
	v_fmac_f16_e64 v49, v209, v0
	v_lshrrev_b32_e32 v0, 16, v1
	s_delay_alu instid0(VALU_DEP_1) | instskip(SKIP_1) | instid1(VALU_DEP_2)
	v_mul_f16_e32 v48, v47, v0
	v_mul_f16_e32 v47, v47, v1
	v_fmac_f16_e64 v48, v211, v1
	s_delay_alu instid0(VALU_DEP_2) | instskip(SKIP_4) | instid1(VALU_DEP_2)
	v_fma_f16 v47, v211, v0, -v47
	ds_load_2addr_b32 v[0:1], v115 offset1:60
	s_waitcnt lgkmcnt(0)
	v_lshrrev_b32_e32 v52, 16, v0
	v_lshrrev_b32_e32 v62, 16, v1
	v_add_f16_e32 v54, v52, v81
	v_fmac_f16_e32 v52, -0.5, v53
	v_add_f16_e32 v53, v0, v80
	v_fma_f16 v0, -0.5, v55, v0
	v_sub_f16_e32 v55, v81, v85
	v_add_f16_e32 v54, v54, v85
	s_delay_alu instid0(VALU_DEP_4) | instskip(NEXT) | instid1(VALU_DEP_3)
	v_add_f16_e32 v53, v53, v84
	v_fmamk_f16 v57, v55, 0xbaee, v0
	v_fmac_f16_e32 v0, 0x3aee, v55
	v_add_f16_e32 v55, v83, v50
	s_delay_alu instid0(VALU_DEP_1) | instskip(SKIP_1) | instid1(VALU_DEP_1)
	v_fmac_f16_e32 v70, -0.5, v55
	v_add_f16_e32 v55, v82, v49
	v_fmac_f16_e32 v51, -0.5, v55
	v_fmamk_f16 v55, v56, 0x3aee, v52
	v_fmac_f16_e32 v52, 0xbaee, v56
	v_sub_f16_e32 v56, v82, v49
	v_add_f16_e32 v49, v59, v49
	s_delay_alu instid0(VALU_DEP_2) | instskip(SKIP_3) | instid1(VALU_DEP_4)
	v_fmamk_f16 v60, v56, 0x3aee, v70
	v_fmac_f16_e32 v70, 0xbaee, v56
	v_sub_f16_e32 v56, v83, v50
	v_add_f16_e32 v50, v58, v50
	v_mul_f16_e32 v58, 0.5, v60
	s_delay_alu instid0(VALU_DEP_3) | instskip(SKIP_3) | instid1(VALU_DEP_4)
	v_fmamk_f16 v59, v56, 0xbaee, v51
	v_fmac_f16_e32 v51, 0x3aee, v56
	v_mul_f16_e32 v56, 0xbaee, v60
	v_mul_f16_e32 v60, -0.5, v70
	v_fmac_f16_e32 v58, 0x3aee, v59
	s_delay_alu instid0(VALU_DEP_3) | instskip(SKIP_1) | instid1(VALU_DEP_4)
	v_fmac_f16_e32 v56, 0.5, v59
	v_mul_f16_e32 v59, 0xbaee, v70
	v_fmac_f16_e32 v60, 0x3aee, v51
	s_delay_alu instid0(VALU_DEP_2)
	v_fmac_f16_e32 v59, -0.5, v51
	v_add_f16_e32 v51, v53, v49
	v_sub_f16_e32 v49, v53, v49
	v_add_f16_e32 v53, v57, v56
	v_sub_f16_e32 v56, v57, v56
	;; [unrolled: 2-line block ×5, first 2 shown]
	v_add_f16_e32 v58, v52, v60
	v_pack_b32_f16 v59, v51, v59
	v_sub_f16_e32 v52, v52, v60
	v_pack_b32_f16 v51, v53, v54
	v_pack_b32_f16 v60, v56, v55
	;; [unrolled: 1-line block ×4, first 2 shown]
	v_add_f16_e32 v49, v1, v37
	v_pack_b32_f16 v0, v0, v52
	s_delay_alu instid0(VALU_DEP_2) | instskip(SKIP_1) | instid1(VALU_DEP_1)
	v_add_f16_e32 v61, v49, v40
	v_add_f16_e32 v49, v62, v43
	;; [unrolled: 1-line block ×4, first 2 shown]
	s_delay_alu instid0(VALU_DEP_1) | instskip(SKIP_1) | instid1(VALU_DEP_1)
	v_add_f16_e32 v64, v49, v48
	v_add_f16_e32 v49, v31, v42
	;; [unrolled: 1-line block ×3, first 2 shown]
	s_delay_alu instid0(VALU_DEP_3) | instskip(NEXT) | instid1(VALU_DEP_2)
	v_add_f16_e32 v49, v61, v64
	v_add_f16_e32 v50, v63, v65
	s_delay_alu instid0(VALU_DEP_1)
	v_pack_b32_f16 v66, v49, v50
	ds_load_2addr_b32 v[49:50], v115 offset0:120 offset1:180
	ds_store_b32 v115, v51 offset:1440
	ds_load_2addr_b32 v[51:52], v20 offset0:128 offset1:188
	ds_load_2addr_b32 v[53:54], v4 offset0:112 offset1:172
	;; [unrolled: 1-line block ×3, first 2 shown]
	ds_store_b32 v115, v57 offset:2880
	ds_store_b32 v115, v58 offset:4320
	;; [unrolled: 1-line block ×4, first 2 shown]
	ds_store_2addr_b32 v115, v59, v66 offset1:60
	v_lshrrev_b32_e32 v58, 16, v227
	v_add_f16_e32 v60, v33, v46
	s_waitcnt lgkmcnt(7)
	v_lshrrev_b32_e32 v0, 16, v51
	s_delay_alu instid0(VALU_DEP_3) | instskip(NEXT) | instid1(VALU_DEP_2)
	v_mul_f16_e32 v57, v58, v51
	v_mul_f16_e32 v58, v58, v0
	s_delay_alu instid0(VALU_DEP_2) | instskip(SKIP_1) | instid1(VALU_DEP_3)
	v_fma_f16 v0, v227, v0, -v57
	v_add_f16_e32 v57, v41, v36
	v_fmac_f16_e64 v58, v227, v51
	v_add_f16_e32 v51, v37, v40
	v_sub_f16_e32 v37, v37, v40
	v_sub_f16_e32 v40, v42, v47
	s_delay_alu instid0(VALU_DEP_3) | instskip(SKIP_3) | instid1(VALU_DEP_3)
	v_fmac_f16_e32 v1, -0.5, v51
	v_add_f16_e32 v51, v43, v44
	v_sub_f16_e32 v43, v43, v44
	v_add_f16_e32 v44, v42, v47
	v_fmac_f16_e32 v62, -0.5, v51
	v_lshrrev_b32_e32 v51, 16, v49
	s_delay_alu instid0(VALU_DEP_3)
	v_fmac_f16_e32 v31, -0.5, v44
	v_add_f16_e32 v44, v39, v48
	v_sub_f16_e32 v39, v39, v48
	v_sub_f16_e32 v48, v63, v65
	v_add_f16_e32 v59, v51, v41
	v_fmac_f16_e32 v51, -0.5, v57
	v_fmac_f16_e32 v27, -0.5, v44
	v_fmamk_f16 v42, v39, 0x3aee, v31
	v_add_f16_e32 v57, v46, v0
	v_sub_f16_e32 v46, v46, v0
	v_fmac_f16_e32 v31, 0xbaee, v39
	v_fmamk_f16 v47, v40, 0xbaee, v27
	v_mul_f16_e32 v44, 0xbaee, v42
	v_mul_f16_e32 v42, 0.5, v42
	v_fmac_f16_e32 v33, -0.5, v57
	v_add_f16_e32 v57, v45, v58
	v_fmac_f16_e32 v27, 0x3aee, v40
	v_fmac_f16_e32 v44, 0.5, v47
	v_fmac_f16_e32 v42, 0x3aee, v47
	v_sub_f16_e32 v47, v61, v64
	v_add_f16_e32 v61, v32, v45
	v_sub_f16_e32 v45, v45, v58
	v_fmac_f16_e32 v32, -0.5, v57
	v_sub_f16_e32 v41, v41, v36
	v_pack_b32_f16 v47, v47, v48
	v_fmamk_f16 v48, v43, 0xbaee, v1
	v_fmamk_f16 v57, v45, 0x3aee, v33
	;; [unrolled: 1-line block ×3, first 2 shown]
	v_fmac_f16_e32 v33, 0xbaee, v45
	v_fmac_f16_e32 v1, 0x3aee, v43
	v_add_f16_e32 v65, v48, v44
	v_mul_f16_e32 v63, 0xbaee, v57
	v_mul_f16_e32 v57, 0.5, v57
	v_fmac_f16_e32 v32, 0x3aee, v46
	v_fmamk_f16 v71, v67, 0x3aee, v51
	v_fmac_f16_e32 v51, 0xbaee, v67
	v_fmac_f16_e32 v63, 0.5, v64
	v_fmac_f16_e32 v57, 0x3aee, v64
	v_fmamk_f16 v64, v37, 0x3aee, v62
	v_fmac_f16_e32 v62, 0xbaee, v37
	v_mul_f16_e32 v37, 0xbaee, v31
	v_mul_f16_e32 v31, -0.5, v31
	v_add_f16_e32 v81, v71, v57
	v_add_f16_e32 v66, v64, v42
	;; [unrolled: 1-line block ×3, first 2 shown]
	v_fmac_f16_e32 v37, -0.5, v27
	v_fmac_f16_e32 v31, 0x3aee, v27
	v_mul_f16_e32 v27, 0xbaee, v33
	v_pack_b32_f16 v65, v65, v66
	v_add_f16_e32 v66, v30, v34
	v_mul_f16_e32 v33, -0.5, v33
	v_add_f16_e32 v39, v62, v31
	v_fmac_f16_e32 v27, -0.5, v32
	v_add_f16_e32 v30, v49, v30
	v_fma_f16 v66, -0.5, v66, v49
	v_fmac_f16_e32 v33, 0x3aee, v32
	v_add_f16_e32 v32, v1, v37
	v_sub_f16_e32 v1, v1, v37
	v_add_f16_e32 v30, v30, v34
	v_fmamk_f16 v70, v41, 0xbaee, v66
	v_fmac_f16_e32 v66, 0x3aee, v41
	v_pack_b32_f16 v32, v32, v39
	v_add_f16_e32 v40, v51, v33
	v_add_f16_e32 v34, v59, v36
	;; [unrolled: 1-line block ×5, first 2 shown]
	v_sub_f16_e32 v41, v71, v57
	v_sub_f16_e32 v43, v34, v0
	v_pack_b32_f16 v80, v80, v81
	v_pack_b32_f16 v39, v39, v40
	ds_store_b32 v115, v47 offset:4560
	ds_store_2addr_b32 v78, v65, v80 offset0:164 offset1:224
	v_sub_f16_e32 v40, v70, v63
	ds_store_2addr_b32 v6, v32, v39 offset0:12 offset1:72
	v_sub_f16_e32 v32, v48, v44
	v_sub_f16_e32 v39, v64, v42
	;; [unrolled: 1-line block ×6, first 2 shown]
	v_pack_b32_f16 v32, v32, v39
	v_pack_b32_f16 v42, v42, v43
	;; [unrolled: 1-line block ×3, first 2 shown]
	v_add_nc_u32_e32 v40, 0x1600, v115
	v_pack_b32_f16 v1, v1, v31
	v_pack_b32_f16 v27, v27, v33
	ds_store_b32 v115, v42 offset:4800
	v_add_f16_e32 v0, v34, v0
	ds_store_2addr_b32 v40, v32, v39 offset0:92 offset1:152
	v_lshrrev_b32_e32 v32, 16, v52
	v_lshrrev_b32_e32 v40, 16, v212
	ds_store_2addr_b32 v20, v1, v27 offset0:68 offset1:128
	v_add_f16_e32 v1, v30, v36
	v_lshrrev_b32_e32 v27, 16, v50
	v_add_f16_e32 v31, v10, v19
	v_mul_f16_e32 v39, v40, v32
	v_mul_f16_e32 v40, v40, v52
	v_pack_b32_f16 v0, v1, v0
	v_add_f16_e32 v1, v50, v12
	v_add_f16_e32 v30, v27, v16
	v_fmac_f16_e64 v39, v212, v52
	v_fma_f16 v32, v212, v32, -v40
	v_add_f16_e32 v33, v11, v25
	v_add_f16_e32 v1, v1, v15
	;; [unrolled: 1-line block ×7, first 2 shown]
	s_delay_alu instid0(VALU_DEP_4) | instskip(NEXT) | instid1(VALU_DEP_3)
	v_add_f16_e32 v34, v1, v31
	v_add_f16_e32 v36, v30, v33
	s_delay_alu instid0(VALU_DEP_1)
	v_pack_b32_f16 v34, v34, v36
	v_add_f16_e32 v36, v13, v23
	ds_store_2addr_b32 v115, v0, v34 offset0:120 offset1:180
	v_sub_f16_e32 v0, v1, v31
	v_sub_f16_e32 v1, v30, v33
	v_lshrrev_b32_e32 v33, 16, v231
	s_waitcnt lgkmcnt(12)
	v_lshrrev_b32_e32 v30, 16, v55
	s_delay_alu instid0(VALU_DEP_3) | instskip(NEXT) | instid1(VALU_DEP_3)
	v_pack_b32_f16 v0, v0, v1
	v_mul_f16_e32 v31, v33, v55
	s_delay_alu instid0(VALU_DEP_3) | instskip(SKIP_1) | instid1(VALU_DEP_3)
	v_mul_f16_e32 v33, v33, v30
	v_add_f16_e32 v1, v53, v18
	v_fma_f16 v30, v231, v30, -v31
	v_lshrrev_b32_e32 v31, 16, v53
	s_delay_alu instid0(VALU_DEP_4) | instskip(NEXT) | instid1(VALU_DEP_4)
	v_fmac_f16_e64 v33, v231, v55
	v_add_f16_e32 v1, v1, v26
	s_delay_alu instid0(VALU_DEP_4) | instskip(NEXT) | instid1(VALU_DEP_4)
	v_add_f16_e32 v37, v37, v30
	v_add_f16_e32 v34, v31, v22
	s_delay_alu instid0(VALU_DEP_4) | instskip(NEXT) | instid1(VALU_DEP_2)
	v_add_f16_e32 v36, v36, v33
	v_add_f16_e32 v34, v34, v29
	s_delay_alu instid0(VALU_DEP_2) | instskip(SKIP_2) | instid1(VALU_DEP_4)
	v_sub_f16_e32 v40, v1, v36
	v_add_f16_e32 v1, v1, v36
	v_lshrrev_b32_e32 v36, 16, v54
	v_sub_f16_e32 v41, v34, v37
	v_add_f16_e32 v34, v34, v37
	s_delay_alu instid0(VALU_DEP_3) | instskip(NEXT) | instid1(VALU_DEP_3)
	v_add_f16_e32 v37, v36, v8
	v_pack_b32_f16 v40, v40, v41
	v_add_nc_u32_e32 v41, 0x1200, v115
	s_delay_alu instid0(VALU_DEP_4)
	v_pack_b32_f16 v1, v1, v34
	v_add_f16_e32 v34, v54, v3
	v_add_f16_e32 v37, v37, v9
	ds_store_2addr_b32 v41, v0, v40 offset0:108 offset1:168
	v_lshrrev_b32_e32 v0, 16, v56
	v_lshrrev_b32_e32 v41, 16, v228
	v_add_f16_e32 v34, v34, v5
	s_delay_alu instid0(VALU_DEP_2) | instskip(SKIP_1) | instid1(VALU_DEP_2)
	v_mul_f16_e32 v40, v41, v0
	v_mul_f16_e32 v41, v41, v56
	v_fmac_f16_e64 v40, v228, v56
	s_delay_alu instid0(VALU_DEP_2) | instskip(SKIP_1) | instid1(VALU_DEP_2)
	v_fma_f16 v0, v228, v0, -v41
	v_add_f16_e32 v41, v2, v35
	v_add_f16_e32 v42, v42, v0
	s_delay_alu instid0(VALU_DEP_2) | instskip(NEXT) | instid1(VALU_DEP_2)
	v_add_f16_e32 v41, v41, v40
	v_add_f16_e32 v44, v37, v42
	s_delay_alu instid0(VALU_DEP_2) | instskip(NEXT) | instid1(VALU_DEP_1)
	v_add_f16_e32 v43, v34, v41
	v_pack_b32_f16 v43, v43, v44
	ds_store_2addr_b32 v4, v1, v43 offset0:112 offset1:172
	v_add_f16_e32 v1, v25, v32
	v_sub_f16_e32 v4, v19, v39
	s_delay_alu instid0(VALU_DEP_2) | instskip(SKIP_4) | instid1(VALU_DEP_4)
	v_fmac_f16_e32 v11, -0.5, v1
	v_add_f16_e32 v1, v19, v39
	v_add_f16_e32 v39, v38, v0
	v_sub_f16_e32 v0, v38, v0
	v_add_f16_e32 v19, v12, v15
	v_fmac_f16_e32 v10, -0.5, v1
	s_delay_alu instid0(VALU_DEP_4)
	v_fmac_f16_e32 v7, -0.5, v39
	v_add_f16_e32 v39, v35, v40
	v_sub_f16_e32 v35, v35, v40
	v_add_f16_e32 v40, v3, v5
	v_fmac_f16_e32 v50, -0.5, v19
	v_sub_f16_e32 v1, v25, v32
	v_fmac_f16_e32 v2, -0.5, v39
	v_fmamk_f16 v38, v35, 0x3aee, v7
	v_fmac_f16_e32 v54, -0.5, v40
	v_fmac_f16_e32 v7, 0xbaee, v35
	v_sub_f16_e32 v35, v8, v9
	v_fmamk_f16 v19, v4, 0x3aee, v11
	v_fmac_f16_e32 v11, 0xbaee, v4
	v_sub_f16_e32 v4, v16, v17
	v_add_f16_e32 v40, v18, v26
	v_fmamk_f16 v39, v35, 0xbaee, v54
	v_fmac_f16_e32 v54, 0x3aee, v35
	v_fmamk_f16 v35, v0, 0xbaee, v2
	v_fmac_f16_e32 v2, 0x3aee, v0
	v_mul_f16_e32 v0, 0xbaee, v7
	v_fmamk_f16 v25, v4, 0xbaee, v50
	v_fmac_f16_e32 v50, 0x3aee, v4
	v_fmamk_f16 v4, v1, 0xbaee, v10
	v_fmac_f16_e32 v10, 0x3aee, v1
	v_fmac_f16_e32 v0, -0.5, v2
	v_mul_f16_e32 v1, 0xbaee, v11
	v_fma_f16 v40, -0.5, v40, v53
	s_delay_alu instid0(VALU_DEP_3)
	v_add_f16_e32 v43, v54, v0
	v_sub_f16_e32 v44, v54, v0
	v_add_f16_e32 v0, v16, v17
	v_add_f16_e32 v17, v24, v30
	v_sub_f16_e32 v16, v22, v29
	v_fmac_f16_e32 v1, -0.5, v10
	s_delay_alu instid0(VALU_DEP_4)
	v_fmac_f16_e32 v27, -0.5, v0
	v_sub_f16_e32 v0, v12, v15
	v_mul_f16_e32 v12, 0xbaee, v19
	v_mul_f16_e32 v15, 0.5, v19
	v_fmac_f16_e32 v14, -0.5, v17
	v_add_f16_e32 v17, v23, v33
	v_sub_f16_e32 v19, v23, v33
	v_fmac_f16_e32 v12, 0.5, v4
	v_fmac_f16_e32 v15, 0x3aee, v4
	v_add_f16_e32 v4, v22, v29
	v_fmac_f16_e32 v13, -0.5, v17
	v_sub_f16_e32 v17, v24, v30
	v_add_f16_e32 v24, v25, v12
	v_add_f16_e32 v32, v50, v1
	v_fmac_f16_e32 v31, -0.5, v4
	v_sub_f16_e32 v4, v18, v26
	v_fmamk_f16 v18, v19, 0x3aee, v14
	v_fmamk_f16 v23, v17, 0xbaee, v13
	v_fmac_f16_e32 v14, 0xbaee, v19
	v_fmac_f16_e32 v13, 0x3aee, v17
	v_fmamk_f16 v29, v4, 0x3aee, v31
	v_mul_f16_e32 v22, 0xbaee, v18
	v_mul_f16_e32 v18, 0.5, v18
	v_fmac_f16_e32 v31, 0xbaee, v4
	v_mul_f16_e32 v4, 0xbaee, v14
	v_sub_f16_e32 v1, v50, v1
	v_fmac_f16_e32 v22, 0.5, v23
	v_fmac_f16_e32 v18, 0x3aee, v23
	v_fmamk_f16 v23, v0, 0x3aee, v27
	v_fmac_f16_e32 v27, 0xbaee, v0
	v_mul_f16_e32 v0, -0.5, v11
	v_fmac_f16_e32 v4, -0.5, v13
	v_add_f16_e32 v33, v29, v18
	v_add_f16_e32 v26, v23, v15
	s_delay_alu instid0(VALU_DEP_4) | instskip(SKIP_1) | instid1(VALU_DEP_3)
	v_fmac_f16_e32 v0, 0x3aee, v10
	v_mul_f16_e32 v10, -0.5, v14
	v_pack_b32_f16 v24, v24, v26
	v_fmamk_f16 v26, v16, 0xbaee, v40
	v_fmac_f16_e32 v40, 0x3aee, v16
	s_delay_alu instid0(VALU_DEP_4)
	v_fmac_f16_e32 v10, 0x3aee, v13
	v_add_f16_e32 v11, v27, v0
	v_sub_f16_e32 v0, v27, v0
	v_add_f16_e32 v30, v26, v22
	v_add_f16_e32 v13, v40, v4
	v_add_f16_e32 v14, v31, v10
	v_pack_b32_f16 v11, v32, v11
	v_sub_f16_e32 v4, v40, v4
	v_sub_f16_e32 v10, v31, v10
	v_pack_b32_f16 v0, v1, v0
	v_pack_b32_f16 v13, v13, v14
	v_sub_f16_e32 v14, v29, v18
	v_pack_b32_f16 v30, v30, v33
	v_pack_b32_f16 v1, v4, v10
	v_mul_f16_e32 v4, -0.5, v7
	ds_store_2addr_b32 v6, v11, v13 offset0:132 offset1:192
	v_sub_f16_e32 v11, v25, v12
	v_sub_f16_e32 v12, v23, v15
	;; [unrolled: 1-line block ×3, first 2 shown]
	ds_store_2addr_b32 v20, v0, v1 offset0:188 offset1:248
	v_fmac_f16_e32 v4, 0x3aee, v2
	v_sub_f16_e32 v2, v34, v41
	v_pack_b32_f16 v11, v11, v12
	v_pack_b32_f16 v12, v13, v14
	v_sub_f16_e32 v7, v37, v42
	ds_store_2addr_b32 v28, v24, v30 offset0:28 offset1:88
	v_lshrrev_b32_e32 v31, 16, v176
	v_lshrrev_b32_e32 v34, 16, v173
	ds_store_2addr_b32 v76, v11, v12 offset0:84 offset1:144
	v_mad_u64_u32 v[10:11], null, s14, v74, 0
	v_pack_b32_f16 v2, v2, v7
	v_lshrrev_b32_e32 v33, 16, v172
	v_lshrrev_b32_e32 v37, 16, v162
	s_delay_alu instid0(VALU_DEP_4) | instskip(NEXT) | instid1(VALU_DEP_1)
	v_mov_b32_e32 v0, v11
	v_mad_u64_u32 v[11:12], null, s15, v74, v[0:1]
	v_add_f16_e32 v0, v8, v9
	s_delay_alu instid0(VALU_DEP_1) | instskip(SKIP_2) | instid1(VALU_DEP_2)
	v_fmac_f16_e32 v36, -0.5, v0
	v_sub_f16_e32 v0, v3, v5
	v_mul_f16_e32 v3, 0.5, v38
	v_fmamk_f16 v1, v0, 0x3aee, v36
	v_fmac_f16_e32 v36, 0xbaee, v0
	v_mul_f16_e32 v0, 0xbaee, v38
	s_delay_alu instid0(VALU_DEP_4) | instskip(NEXT) | instid1(VALU_DEP_2)
	v_fmac_f16_e32 v3, 0x3aee, v35
	v_fmac_f16_e32 v0, 0.5, v35
	s_delay_alu instid0(VALU_DEP_2)
	v_add_f16_e32 v8, v1, v3
	v_sub_f16_e32 v1, v1, v3
	v_add_f16_e32 v3, v36, v4
	v_sub_f16_e32 v4, v36, v4
	;; [unrolled: 2-line block ×3, first 2 shown]
	v_lshrrev_b32_e32 v35, 16, v169
	v_pack_b32_f16 v3, v43, v3
	v_lshrrev_b32_e32 v36, 16, v167
	v_pack_b32_f16 v5, v5, v8
	v_pack_b32_f16 v0, v0, v1
	;; [unrolled: 1-line block ×3, first 2 shown]
	ds_store_b32 v115, v5 offset:2640
	ds_store_b32 v115, v3 offset:4080
	;; [unrolled: 1-line block ×5, first 2 shown]
	s_waitcnt lgkmcnt(0)
	s_barrier
	buffer_gl0_inv
	ds_load_2addr_b32 v[4:5], v115 offset1:60
	v_mad_u64_u32 v[2:3], null, s12, v174, 0
	s_waitcnt lgkmcnt(0)
	v_lshrrev_b32_e32 v16, 16, v4
	v_mul_f16_e32 v0, v31, v4
	s_delay_alu instid0(VALU_DEP_1) | instskip(NEXT) | instid1(VALU_DEP_1)
	v_fma_f16 v0, v176, v16, -v0
	v_cvt_f32_f16_e32 v0, v0
	s_delay_alu instid0(VALU_DEP_1) | instskip(NEXT) | instid1(VALU_DEP_1)
	v_cvt_f64_f32_e32 v[0:1], v0
	v_mul_f64 v[12:13], v[0:1], s[10:11]
	s_delay_alu instid0(VALU_DEP_1) | instskip(SKIP_3) | instid1(VALU_DEP_4)
	v_and_or_b32 v0, 0x1ff, v13, v12
	v_lshrrev_b32_e32 v1, 8, v13
	v_bfe_u32 v19, v13, 20, 11
	v_lshrrev_b32_e32 v13, 16, v13
	v_cmp_ne_u32_e64 s0, 0, v0
	s_delay_alu instid0(VALU_DEP_1) | instskip(NEXT) | instid1(VALU_DEP_1)
	v_cndmask_b32_e64 v0, 0, 1, s0
	v_and_or_b32 v18, 0xffe, v1, v0
	v_sub_nc_u32_e32 v0, 0x3f1, v19
	v_add_nc_u32_e32 v19, 0xfffffc10, v19
	s_delay_alu instid0(VALU_DEP_3) | instskip(NEXT) | instid1(VALU_DEP_3)
	v_or_b32_e32 v1, 0x1000, v18
	v_med3_i32 v0, v0, 0, 13
	s_delay_alu instid0(VALU_DEP_1) | instskip(NEXT) | instid1(VALU_DEP_1)
	v_lshrrev_b32_e32 v24, v0, v1
	v_lshlrev_b32_e32 v0, v0, v24
	s_delay_alu instid0(VALU_DEP_1) | instskip(SKIP_1) | instid1(VALU_DEP_1)
	v_cmp_ne_u32_e64 s0, v0, v1
	v_mov_b32_e32 v0, v3
	v_mad_u64_u32 v[7:8], null, s13, v174, v[0:1]
	ds_load_2addr_b32 v[0:1], v115 offset0:120 offset1:216
	v_mov_b32_e32 v3, v7
	s_delay_alu instid0(VALU_DEP_1) | instskip(SKIP_3) | instid1(VALU_DEP_1)
	v_lshlrev_b64 v[2:3], 2, v[2:3]
	s_waitcnt lgkmcnt(0)
	v_lshrrev_b32_e32 v25, 16, v1
	v_mul_f16_e32 v7, v34, v1
	v_fma_f16 v7, v173, v25, -v7
	s_delay_alu instid0(VALU_DEP_1) | instskip(NEXT) | instid1(VALU_DEP_1)
	v_cvt_f32_f16_e32 v7, v7
	v_cvt_f64_f32_e32 v[7:8], v7
	s_delay_alu instid0(VALU_DEP_1) | instskip(NEXT) | instid1(VALU_DEP_1)
	v_mul_f64 v[14:15], v[7:8], s[10:11]
	v_and_or_b32 v7, 0x1ff, v15, v14
	v_lshrrev_b32_e32 v8, 8, v15
	v_bfe_u32 v26, v15, 20, 11
	s_delay_alu instid0(VALU_DEP_3) | instskip(NEXT) | instid1(VALU_DEP_1)
	v_cmp_ne_u32_e64 s1, 0, v7
	v_cndmask_b32_e64 v7, 0, 1, s1
	s_delay_alu instid0(VALU_DEP_1) | instskip(NEXT) | instid1(VALU_DEP_4)
	v_and_or_b32 v14, 0xffe, v8, v7
	v_sub_nc_u32_e32 v7, 0x3f1, v26
	s_delay_alu instid0(VALU_DEP_2) | instskip(NEXT) | instid1(VALU_DEP_2)
	v_or_b32_e32 v8, 0x1000, v14
	v_med3_i32 v7, v7, 0, 13
	s_delay_alu instid0(VALU_DEP_1) | instskip(NEXT) | instid1(VALU_DEP_1)
	v_lshrrev_b32_e32 v27, v7, v8
	v_lshlrev_b32_e32 v7, v7, v27
	s_delay_alu instid0(VALU_DEP_1) | instskip(SKIP_1) | instid1(VALU_DEP_1)
	v_cmp_ne_u32_e64 s2, v7, v8
	v_lshlrev_b64 v[7:8], 2, v[10:11]
	v_add_co_u32 v22, s1, s4, v7
	s_delay_alu instid0(VALU_DEP_1) | instskip(SKIP_2) | instid1(VALU_DEP_1)
	v_add_co_ci_u32_e64 v23, s1, s5, v8, s1
	ds_load_2addr_b32 v[7:8], v78 offset0:176 offset1:236
	v_add_co_u32 v10, s1, v22, v2
	v_add_co_ci_u32_e64 v11, s1, v23, v3, s1
	s_waitcnt lgkmcnt(0)
	v_lshrrev_b32_e32 v29, 16, v7
	v_mul_f16_e32 v2, v33, v7
	s_delay_alu instid0(VALU_DEP_1) | instskip(NEXT) | instid1(VALU_DEP_1)
	v_fma_f16 v2, v172, v29, -v2
	v_cvt_f32_f16_e32 v2, v2
	s_delay_alu instid0(VALU_DEP_1) | instskip(NEXT) | instid1(VALU_DEP_1)
	v_cvt_f64_f32_e32 v[2:3], v2
	v_mul_f64 v[2:3], v[2:3], s[10:11]
	s_delay_alu instid0(VALU_DEP_1) | instskip(SKIP_3) | instid1(VALU_DEP_4)
	v_and_or_b32 v2, 0x1ff, v3, v2
	v_lshrrev_b32_e32 v9, 8, v3
	v_bfe_u32 v12, v3, 20, 11
	v_lshrrev_b32_e32 v3, 16, v3
	v_cmp_ne_u32_e64 s1, 0, v2
	s_delay_alu instid0(VALU_DEP_1) | instskip(NEXT) | instid1(VALU_DEP_1)
	v_cndmask_b32_e64 v2, 0, 1, s1
	v_and_or_b32 v9, 0xffe, v9, v2
	v_sub_nc_u32_e32 v2, 0x3f1, v12
	v_add_nc_u32_e32 v12, 0xfffffc10, v12
	s_delay_alu instid0(VALU_DEP_3) | instskip(NEXT) | instid1(VALU_DEP_3)
	v_or_b32_e32 v17, 0x1000, v9
	v_med3_i32 v2, v2, 0, 13
	s_delay_alu instid0(VALU_DEP_1) | instskip(NEXT) | instid1(VALU_DEP_1)
	v_lshrrev_b32_e32 v30, v2, v17
	v_lshlrev_b32_e32 v2, v2, v30
	s_delay_alu instid0(VALU_DEP_1) | instskip(SKIP_1) | instid1(VALU_DEP_1)
	v_cmp_ne_u32_e64 s1, v2, v17
	v_mul_f16_e32 v2, v31, v16
	v_fmac_f16_e64 v2, v176, v4
	s_delay_alu instid0(VALU_DEP_1) | instskip(NEXT) | instid1(VALU_DEP_1)
	v_cvt_f32_f16_e32 v2, v2
	v_cvt_f64_f32_e32 v[16:17], v2
	s_delay_alu instid0(VALU_DEP_1) | instskip(NEXT) | instid1(VALU_DEP_1)
	v_mul_f64 v[16:17], v[16:17], s[10:11]
	v_and_or_b32 v2, 0x1ff, v17, v16
	v_lshrrev_b32_e32 v4, 8, v17
	s_delay_alu instid0(VALU_DEP_2) | instskip(NEXT) | instid1(VALU_DEP_1)
	v_cmp_ne_u32_e64 s3, 0, v2
	v_cndmask_b32_e64 v2, 0, 1, s3
	s_delay_alu instid0(VALU_DEP_1) | instskip(SKIP_1) | instid1(VALU_DEP_2)
	v_and_or_b32 v2, 0xffe, v4, v2
	v_bfe_u32 v4, v17, 20, 11
	v_or_b32_e32 v31, 0x1000, v2
	s_delay_alu instid0(VALU_DEP_2) | instskip(SKIP_2) | instid1(VALU_DEP_3)
	v_sub_nc_u32_e32 v16, 0x3f1, v4
	v_add_nc_u32_e32 v4, 0xfffffc10, v4
	v_cmp_ne_u32_e64 s4, 0, v2
	v_med3_i32 v16, v16, 0, 13
	s_delay_alu instid0(VALU_DEP_1) | instskip(NEXT) | instid1(VALU_DEP_1)
	v_lshrrev_b32_e32 v32, v16, v31
	v_lshlrev_b32_e32 v16, v16, v32
	s_delay_alu instid0(VALU_DEP_1) | instskip(SKIP_1) | instid1(VALU_DEP_2)
	v_cmp_ne_u32_e64 s3, v16, v31
	v_lshl_or_b32 v31, v4, 12, v2
	v_cndmask_b32_e64 v16, 0, 1, s3
	v_cmp_gt_i32_e64 s3, 1, v4
	s_delay_alu instid0(VALU_DEP_2) | instskip(NEXT) | instid1(VALU_DEP_1)
	v_or_b32_e32 v16, v32, v16
	v_cndmask_b32_e64 v16, v31, v16, s3
	v_cndmask_b32_e64 v31, 0, 1, s0
	v_cmp_gt_i32_e64 s0, 1, v19
	s_delay_alu instid0(VALU_DEP_2) | instskip(SKIP_1) | instid1(VALU_DEP_1)
	v_or_b32_e32 v24, v24, v31
	v_lshl_or_b32 v31, v19, 12, v18
	v_cndmask_b32_e64 v24, v31, v24, s0
	v_and_b32_e32 v31, 7, v16
	s_delay_alu instid0(VALU_DEP_2) | instskip(NEXT) | instid1(VALU_DEP_2)
	v_and_b32_e32 v2, 7, v24
	v_cmp_lt_i32_e64 s0, 5, v31
	v_cmp_eq_u32_e64 s3, 3, v31
	s_delay_alu instid0(VALU_DEP_3) | instskip(SKIP_2) | instid1(VALU_DEP_4)
	v_cmp_lt_i32_e64 s5, 5, v2
	v_cmp_eq_u32_e64 s6, 3, v2
	v_lshrrev_b32_e32 v2, 2, v16
	s_or_b32 s0, s3, s0
	v_cndmask_b32_e64 v16, 0, 1, s4
	s_mul_i32 s4, s12, 0xd8
	s_or_b32 s3, s6, s5
	v_add_co_ci_u32_e64 v2, s0, 0, v2, s0
	v_cmp_gt_i32_e64 s0, 31, v4
	v_lshl_or_b32 v16, v16, 9, 0x7c00
	v_cmp_ne_u32_e64 s6, 0, v9
	s_delay_alu instid0(VALU_DEP_3) | instskip(SKIP_2) | instid1(VALU_DEP_2)
	v_cndmask_b32_e64 v2, 0x7c00, v2, s0
	v_cmp_eq_u32_e64 s0, 0x40f, v4
	v_lshrrev_b32_e32 v4, 16, v17
	v_cndmask_b32_e64 v2, v2, v16, s0
	v_lshrrev_b32_e32 v16, 2, v24
	v_cmp_ne_u32_e64 s0, 0, v18
	s_delay_alu instid0(VALU_DEP_3) | instskip(NEXT) | instid1(VALU_DEP_3)
	v_and_or_b32 v2, 0x8000, v4, v2
	v_add_co_ci_u32_e64 v16, s3, 0, v16, s3
	v_cmp_gt_i32_e64 s3, 31, v19
	s_delay_alu instid0(VALU_DEP_4) | instskip(SKIP_2) | instid1(VALU_DEP_4)
	v_cndmask_b32_e64 v17, 0, 1, s0
	v_cmp_eq_u32_e64 s0, 0x40f, v19
	v_and_b32_e32 v2, 0xffff, v2
	v_cndmask_b32_e64 v16, 0x7c00, v16, s3
	s_delay_alu instid0(VALU_DEP_4) | instskip(SKIP_1) | instid1(VALU_DEP_1)
	v_lshl_or_b32 v17, v17, 9, 0x7c00
	s_mul_hi_u32 s3, s12, 0xd8
	v_cndmask_b32_e64 v16, v16, v17, s0
	s_mul_i32 s0, s13, 0xd8
	s_delay_alu instid0(SALU_CYCLE_1) | instskip(NEXT) | instid1(VALU_DEP_1)
	s_add_i32 s5, s3, s0
	v_and_or_b32 v4, 0x8000, v13, v16
	s_lshl_b64 s[14:15], s[4:5], 2
	s_delay_alu instid0(VALU_DEP_1) | instskip(SKIP_3) | instid1(VALU_DEP_1)
	v_lshl_or_b32 v2, v4, 16, v2
	global_store_b32 v[10:11], v2, off
	v_mul_f16_e32 v2, v34, v25
	v_add_co_u32 v10, s0, v10, s14
	v_add_co_ci_u32_e64 v11, s0, s15, v11, s0
	s_delay_alu instid0(VALU_DEP_3) | instskip(SKIP_1) | instid1(VALU_DEP_2)
	v_fmac_f16_e64 v2, v173, v1
	v_lshrrev_b32_e32 v34, 16, v164
	v_cvt_f32_f16_e32 v1, v2
	s_delay_alu instid0(VALU_DEP_1) | instskip(NEXT) | instid1(VALU_DEP_1)
	v_cvt_f64_f32_e32 v[1:2], v1
	v_mul_f64 v[1:2], v[1:2], s[10:11]
	s_delay_alu instid0(VALU_DEP_1) | instskip(SKIP_1) | instid1(VALU_DEP_2)
	v_and_or_b32 v1, 0x1ff, v2, v1
	v_lshrrev_b32_e32 v4, 8, v2
	v_cmp_ne_u32_e64 s0, 0, v1
	s_delay_alu instid0(VALU_DEP_1) | instskip(NEXT) | instid1(VALU_DEP_1)
	v_cndmask_b32_e64 v1, 0, 1, s0
	v_and_or_b32 v1, 0xffe, v4, v1
	v_bfe_u32 v4, v2, 20, 11
	v_lshrrev_b32_e32 v2, 16, v2
	s_delay_alu instid0(VALU_DEP_3) | instskip(NEXT) | instid1(VALU_DEP_3)
	v_or_b32_e32 v16, 0x1000, v1
	v_sub_nc_u32_e32 v13, 0x3f1, v4
	v_add_nc_u32_e32 v4, 0xfffffc10, v4
	v_cmp_ne_u32_e64 s4, 0, v1
	s_delay_alu instid0(VALU_DEP_3) | instskip(NEXT) | instid1(VALU_DEP_1)
	v_med3_i32 v13, v13, 0, 13
	v_lshrrev_b32_e32 v17, v13, v16
	s_delay_alu instid0(VALU_DEP_1) | instskip(NEXT) | instid1(VALU_DEP_1)
	v_lshlrev_b32_e32 v13, v13, v17
	v_cmp_ne_u32_e64 s0, v13, v16
	v_lshl_or_b32 v16, v4, 12, v1
	v_cndmask_b32_e64 v1, 0, 1, s2
	s_delay_alu instid0(VALU_DEP_3) | instskip(SKIP_1) | instid1(VALU_DEP_3)
	v_cndmask_b32_e64 v13, 0, 1, s0
	v_cmp_gt_i32_e64 s0, 1, v4
	v_or_b32_e32 v1, v27, v1
	s_delay_alu instid0(VALU_DEP_3) | instskip(NEXT) | instid1(VALU_DEP_1)
	v_or_b32_e32 v13, v17, v13
	v_cndmask_b32_e64 v13, v16, v13, s0
	s_delay_alu instid0(VALU_DEP_1) | instskip(SKIP_1) | instid1(VALU_DEP_2)
	v_and_b32_e32 v16, 7, v13
	v_lshrrev_b32_e32 v13, 2, v13
	v_cmp_lt_i32_e64 s0, 5, v16
	v_cmp_eq_u32_e64 s3, 3, v16
	v_add_nc_u32_e32 v16, 0xfffffc10, v26
	s_delay_alu instid0(VALU_DEP_2) | instskip(NEXT) | instid1(VALU_DEP_1)
	s_or_b32 s0, s3, s0
	v_lshl_or_b32 v17, v16, 12, v14
	v_cmp_gt_i32_e64 s2, 1, v16
	v_add_co_ci_u32_e64 v13, s0, 0, v13, s0
	v_cmp_gt_i32_e64 s0, 31, v4
	v_cmp_ne_u32_e64 s3, 0, v14
	s_delay_alu instid0(VALU_DEP_4) | instskip(SKIP_1) | instid1(VALU_DEP_4)
	v_cndmask_b32_e64 v1, v17, v1, s2
	v_cndmask_b32_e64 v17, 0, 1, s4
	;; [unrolled: 1-line block ×3, first 2 shown]
	v_cmp_eq_u32_e64 s0, 0x40f, v4
	s_delay_alu instid0(VALU_DEP_3) | instskip(NEXT) | instid1(VALU_DEP_1)
	v_lshl_or_b32 v17, v17, 9, 0x7c00
	v_cndmask_b32_e64 v4, v13, v17, s0
	v_and_b32_e32 v13, 7, v1
	v_lshrrev_b32_e32 v1, 2, v1
	s_delay_alu instid0(VALU_DEP_3) | instskip(NEXT) | instid1(VALU_DEP_3)
	v_and_or_b32 v2, 0x8000, v2, v4
	v_cmp_lt_i32_e64 s0, 5, v13
	v_cmp_eq_u32_e64 s2, 3, v13
	v_cndmask_b32_e64 v13, 0, 1, s3
	s_delay_alu instid0(VALU_DEP_4) | instskip(NEXT) | instid1(VALU_DEP_3)
	v_and_b32_e32 v2, 0xffff, v2
	s_or_b32 s0, s2, s0
	s_delay_alu instid0(VALU_DEP_2) | instskip(SKIP_2) | instid1(VALU_DEP_1)
	v_lshl_or_b32 v13, v13, 9, 0x7c00
	v_add_co_ci_u32_e64 v1, s0, 0, v1, s0
	v_cmp_gt_i32_e64 s0, 31, v16
	v_cndmask_b32_e64 v1, 0x7c00, v1, s0
	v_cmp_eq_u32_e64 s0, 0x40f, v16
	s_delay_alu instid0(VALU_DEP_1) | instskip(SKIP_2) | instid1(VALU_DEP_1)
	v_cndmask_b32_e64 v1, v1, v13, s0
	v_lshrrev_b32_e32 v13, 16, v15
	v_add_co_u32 v17, s0, v10, s14
	v_add_co_ci_u32_e64 v18, s0, s15, v11, s0
	s_delay_alu instid0(VALU_DEP_3) | instskip(NEXT) | instid1(VALU_DEP_1)
	v_and_or_b32 v1, 0x8000, v13, v1
	v_lshl_or_b32 v1, v1, 16, v2
	global_store_b32 v[10:11], v1, off
	ds_load_2addr_b32 v[1:2], v28 offset0:40 offset1:136
	s_waitcnt lgkmcnt(0)
	v_lshrrev_b32_e32 v28, 16, v2
	v_mul_f16_e32 v4, v35, v2
	s_delay_alu instid0(VALU_DEP_1) | instskip(NEXT) | instid1(VALU_DEP_1)
	v_fma_f16 v4, v169, v28, -v4
	v_cvt_f32_f16_e32 v4, v4
	s_delay_alu instid0(VALU_DEP_1) | instskip(NEXT) | instid1(VALU_DEP_1)
	v_cvt_f64_f32_e32 v[10:11], v4
	v_mul_f64 v[10:11], v[10:11], s[10:11]
	s_delay_alu instid0(VALU_DEP_1) | instskip(SKIP_3) | instid1(VALU_DEP_4)
	v_and_or_b32 v4, 0x1ff, v11, v10
	v_lshrrev_b32_e32 v10, 8, v11
	v_bfe_u32 v15, v11, 20, 11
	v_lshrrev_b32_e32 v11, 16, v11
	v_cmp_ne_u32_e64 s0, 0, v4
	s_delay_alu instid0(VALU_DEP_1) | instskip(NEXT) | instid1(VALU_DEP_1)
	v_cndmask_b32_e64 v4, 0, 1, s0
	v_and_or_b32 v14, 0xffe, v10, v4
	v_sub_nc_u32_e32 v4, 0x3f1, v15
	v_add_nc_u32_e32 v15, 0xfffffc10, v15
	s_delay_alu instid0(VALU_DEP_3) | instskip(NEXT) | instid1(VALU_DEP_3)
	v_or_b32_e32 v10, 0x1000, v14
	v_med3_i32 v4, v4, 0, 13
	s_delay_alu instid0(VALU_DEP_1) | instskip(NEXT) | instid1(VALU_DEP_1)
	v_lshrrev_b32_e32 v16, v4, v10
	v_lshlrev_b32_e32 v4, v4, v16
	s_delay_alu instid0(VALU_DEP_1) | instskip(SKIP_1) | instid1(VALU_DEP_1)
	v_cmp_ne_u32_e64 s0, v4, v10
	v_mul_f16_e32 v4, v33, v29
	v_fmac_f16_e64 v4, v172, v7
	s_delay_alu instid0(VALU_DEP_1) | instskip(NEXT) | instid1(VALU_DEP_1)
	v_cvt_f32_f16_e32 v4, v4
	v_cvt_f64_f32_e32 v[24:25], v4
	s_delay_alu instid0(VALU_DEP_1) | instskip(NEXT) | instid1(VALU_DEP_1)
	v_mul_f64 v[24:25], v[24:25], s[10:11]
	v_and_or_b32 v4, 0x1ff, v25, v24
	v_lshrrev_b32_e32 v7, 8, v25
	s_delay_alu instid0(VALU_DEP_2) | instskip(NEXT) | instid1(VALU_DEP_1)
	v_cmp_ne_u32_e64 s2, 0, v4
	v_cndmask_b32_e64 v4, 0, 1, s2
	s_delay_alu instid0(VALU_DEP_1) | instskip(SKIP_1) | instid1(VALU_DEP_2)
	v_and_or_b32 v4, 0xffe, v7, v4
	v_bfe_u32 v7, v25, 20, 11
	v_or_b32_e32 v13, 0x1000, v4
	s_delay_alu instid0(VALU_DEP_2) | instskip(SKIP_2) | instid1(VALU_DEP_3)
	v_sub_nc_u32_e32 v10, 0x3f1, v7
	v_add_nc_u32_e32 v7, 0xfffffc10, v7
	v_cmp_ne_u32_e64 s5, 0, v4
	v_med3_i32 v10, v10, 0, 13
	s_delay_alu instid0(VALU_DEP_1) | instskip(NEXT) | instid1(VALU_DEP_1)
	v_lshrrev_b32_e32 v19, v10, v13
	v_lshlrev_b32_e32 v10, v10, v19
	s_delay_alu instid0(VALU_DEP_1) | instskip(SKIP_1) | instid1(VALU_DEP_2)
	v_cmp_ne_u32_e64 s2, v10, v13
	v_lshl_or_b32 v13, v7, 12, v4
	v_cndmask_b32_e64 v10, 0, 1, s2
	v_cmp_gt_i32_e64 s2, 1, v7
	s_delay_alu instid0(VALU_DEP_2) | instskip(SKIP_2) | instid1(VALU_DEP_3)
	v_or_b32_e32 v10, v19, v10
	v_lshl_or_b32 v19, v12, 12, v9
	v_cndmask_b32_e64 v9, 0, 1, s5
	v_cndmask_b32_e64 v10, v13, v10, s2
	;; [unrolled: 1-line block ×3, first 2 shown]
	v_cmp_gt_i32_e64 s1, 1, v12
	s_delay_alu instid0(VALU_DEP_4) | instskip(NEXT) | instid1(VALU_DEP_4)
	v_lshl_or_b32 v9, v9, 9, 0x7c00
	v_lshrrev_b32_e32 v4, 2, v10
	s_delay_alu instid0(VALU_DEP_4) | instskip(NEXT) | instid1(VALU_DEP_1)
	v_or_b32_e32 v13, v30, v13
	v_cndmask_b32_e64 v13, v19, v13, s1
	v_and_b32_e32 v19, 7, v10
	v_cndmask_b32_e64 v10, 0, 1, s6
	s_delay_alu instid0(VALU_DEP_2) | instskip(SKIP_2) | instid1(VALU_DEP_4)
	v_cmp_lt_i32_e64 s1, 5, v19
	v_cmp_eq_u32_e64 s2, 3, v19
	v_and_b32_e32 v19, 7, v13
	v_lshl_or_b32 v10, v10, 9, 0x7c00
	s_delay_alu instid0(VALU_DEP_3) | instskip(NEXT) | instid1(VALU_DEP_2)
	s_or_b32 s1, s2, s1
	v_cmp_lt_i32_e64 s3, 5, v19
	v_add_co_ci_u32_e64 v4, s1, 0, v4, s1
	v_cmp_gt_i32_e64 s1, 31, v7
	v_cmp_eq_u32_e64 s4, 3, v19
	s_delay_alu instid0(VALU_DEP_2) | instskip(SKIP_2) | instid1(VALU_DEP_2)
	v_cndmask_b32_e64 v4, 0x7c00, v4, s1
	v_cmp_eq_u32_e64 s1, 0x40f, v7
	v_lshrrev_b32_e32 v7, 16, v25
	v_cndmask_b32_e64 v4, v4, v9, s1
	v_lshrrev_b32_e32 v9, 2, v13
	s_or_b32 s1, s4, s3
	s_delay_alu instid0(VALU_DEP_2) | instskip(NEXT) | instid1(VALU_DEP_2)
	v_and_or_b32 v4, 0x8000, v7, v4
	v_add_co_ci_u32_e64 v9, s1, 0, v9, s1
	v_cmp_gt_i32_e64 s1, 31, v12
	s_delay_alu instid0(VALU_DEP_3) | instskip(NEXT) | instid1(VALU_DEP_2)
	v_and_b32_e32 v4, 0xffff, v4
	v_cndmask_b32_e64 v9, 0x7c00, v9, s1
	v_cmp_eq_u32_e64 s1, 0x40f, v12
	s_delay_alu instid0(VALU_DEP_1) | instskip(SKIP_1) | instid1(VALU_DEP_1)
	v_cndmask_b32_e64 v9, v9, v10, s1
	v_add_co_u32 v24, s1, v17, s14
	v_add_co_ci_u32_e64 v25, s1, s15, v18, s1
	s_delay_alu instid0(VALU_DEP_3)
	v_and_or_b32 v3, 0x8000, v3, v9
	ds_load_2addr_b32 v[9:10], v6 offset0:96 offset1:156
	v_lshl_or_b32 v3, v3, 16, v4
	global_store_b32 v[17:18], v3, off
	s_waitcnt lgkmcnt(0)
	v_lshrrev_b32_e32 v31, 16, v9
	v_mul_f16_e32 v3, v36, v9
	s_delay_alu instid0(VALU_DEP_1) | instskip(NEXT) | instid1(VALU_DEP_1)
	v_fma_f16 v3, v167, v31, -v3
	v_cvt_f32_f16_e32 v3, v3
	s_delay_alu instid0(VALU_DEP_1) | instskip(NEXT) | instid1(VALU_DEP_1)
	v_cvt_f64_f32_e32 v[3:4], v3
	v_mul_f64 v[6:7], v[3:4], s[10:11]
	s_delay_alu instid0(VALU_DEP_1) | instskip(SKIP_2) | instid1(VALU_DEP_3)
	v_and_or_b32 v3, 0x1ff, v7, v6
	v_lshrrev_b32_e32 v4, 8, v7
	v_bfe_u32 v32, v7, 20, 11
	v_cmp_ne_u32_e64 s1, 0, v3
	s_delay_alu instid0(VALU_DEP_1) | instskip(NEXT) | instid1(VALU_DEP_1)
	v_cndmask_b32_e64 v3, 0, 1, s1
	v_and_or_b32 v6, 0xffe, v4, v3
	s_delay_alu instid0(VALU_DEP_4) | instskip(NEXT) | instid1(VALU_DEP_2)
	v_sub_nc_u32_e32 v3, 0x3f1, v32
	v_or_b32_e32 v4, 0x1000, v6
	s_delay_alu instid0(VALU_DEP_2) | instskip(NEXT) | instid1(VALU_DEP_1)
	v_med3_i32 v3, v3, 0, 13
	v_lshrrev_b32_e32 v33, v3, v4
	s_delay_alu instid0(VALU_DEP_1) | instskip(NEXT) | instid1(VALU_DEP_1)
	v_lshlrev_b32_e32 v3, v3, v33
	v_cmp_ne_u32_e64 s3, v3, v4
	v_add_nc_u32_e32 v3, 0xe00, v115
	ds_load_2addr_b32 v[3:4], v3 offset0:88 offset1:184
	s_waitcnt lgkmcnt(0)
	v_lshrrev_b32_e32 v18, 16, v4
	v_mul_f16_e32 v12, v34, v4
	s_delay_alu instid0(VALU_DEP_1) | instskip(NEXT) | instid1(VALU_DEP_1)
	v_fma_f16 v12, v164, v18, -v12
	v_cvt_f32_f16_e32 v12, v12
	s_delay_alu instid0(VALU_DEP_1) | instskip(NEXT) | instid1(VALU_DEP_1)
	v_cvt_f64_f32_e32 v[12:13], v12
	v_mul_f64 v[12:13], v[12:13], s[10:11]
	s_delay_alu instid0(VALU_DEP_1) | instskip(SKIP_3) | instid1(VALU_DEP_4)
	v_and_or_b32 v12, 0x1ff, v13, v12
	v_lshrrev_b32_e32 v17, 8, v13
	v_bfe_u32 v26, v13, 20, 11
	v_lshrrev_b32_e32 v13, 16, v13
	v_cmp_ne_u32_e64 s1, 0, v12
	s_delay_alu instid0(VALU_DEP_1) | instskip(NEXT) | instid1(VALU_DEP_1)
	v_cndmask_b32_e64 v12, 0, 1, s1
	v_and_or_b32 v19, 0xffe, v17, v12
	v_sub_nc_u32_e32 v12, 0x3f1, v26
	s_delay_alu instid0(VALU_DEP_2) | instskip(NEXT) | instid1(VALU_DEP_2)
	v_or_b32_e32 v17, 0x1000, v19
	v_med3_i32 v12, v12, 0, 13
	s_delay_alu instid0(VALU_DEP_1) | instskip(NEXT) | instid1(VALU_DEP_1)
	v_lshrrev_b32_e32 v27, v12, v17
	v_lshlrev_b32_e32 v12, v12, v27
	s_delay_alu instid0(VALU_DEP_1) | instskip(SKIP_1) | instid1(VALU_DEP_1)
	v_cmp_ne_u32_e64 s1, v12, v17
	v_mul_f16_e32 v12, v35, v28
	v_fmac_f16_e64 v12, v169, v2
	s_delay_alu instid0(VALU_DEP_1) | instskip(NEXT) | instid1(VALU_DEP_1)
	v_cvt_f32_f16_e32 v2, v12
	v_cvt_f64_f32_e32 v[28:29], v2
	s_delay_alu instid0(VALU_DEP_1) | instskip(NEXT) | instid1(VALU_DEP_1)
	v_mul_f64 v[28:29], v[28:29], s[10:11]
	v_and_or_b32 v2, 0x1ff, v29, v28
	v_lshrrev_b32_e32 v12, 8, v29
	s_delay_alu instid0(VALU_DEP_2) | instskip(NEXT) | instid1(VALU_DEP_1)
	v_cmp_ne_u32_e64 s2, 0, v2
	v_cndmask_b32_e64 v2, 0, 1, s2
	s_delay_alu instid0(VALU_DEP_1) | instskip(SKIP_1) | instid1(VALU_DEP_2)
	v_and_or_b32 v2, 0xffe, v12, v2
	v_bfe_u32 v12, v29, 20, 11
	v_or_b32_e32 v28, 0x1000, v2
	s_delay_alu instid0(VALU_DEP_2) | instskip(SKIP_2) | instid1(VALU_DEP_3)
	v_sub_nc_u32_e32 v17, 0x3f1, v12
	v_add_nc_u32_e32 v12, 0xfffffc10, v12
	v_cmp_ne_u32_e64 s5, 0, v2
	v_med3_i32 v17, v17, 0, 13
	s_delay_alu instid0(VALU_DEP_1) | instskip(NEXT) | instid1(VALU_DEP_1)
	v_lshrrev_b32_e32 v30, v17, v28
	v_lshlrev_b32_e32 v17, v17, v30
	s_delay_alu instid0(VALU_DEP_1) | instskip(SKIP_3) | instid1(VALU_DEP_4)
	v_cmp_ne_u32_e64 s2, v17, v28
	v_lshl_or_b32 v28, v12, 12, v2
	v_cndmask_b32_e64 v2, 0, 1, s0
	v_cmp_gt_i32_e64 s0, 1, v15
	v_cndmask_b32_e64 v17, 0, 1, s2
	v_cmp_gt_i32_e64 s2, 1, v12
	s_delay_alu instid0(VALU_DEP_4) | instskip(SKIP_1) | instid1(VALU_DEP_4)
	v_or_b32_e32 v2, v16, v2
	v_lshl_or_b32 v16, v15, 12, v14
	v_or_b32_e32 v17, v30, v17
	s_delay_alu instid0(VALU_DEP_2) | instskip(NEXT) | instid1(VALU_DEP_2)
	v_cndmask_b32_e64 v2, v16, v2, s0
	v_cndmask_b32_e64 v17, v28, v17, s2
	s_delay_alu instid0(VALU_DEP_1) | instskip(SKIP_2) | instid1(VALU_DEP_3)
	v_and_b32_e32 v28, 7, v17
	v_lshrrev_b32_e32 v16, 2, v17
	v_cndmask_b32_e64 v17, 0, 1, s5
	v_cmp_lt_i32_e64 s2, 5, v28
	v_cmp_eq_u32_e64 s4, 3, v28
	s_delay_alu instid0(VALU_DEP_3) | instskip(NEXT) | instid1(VALU_DEP_2)
	v_lshl_or_b32 v17, v17, 9, 0x7c00
	s_or_b32 s0, s4, s2
	v_cmp_ne_u32_e64 s4, 0, v14
	v_add_co_ci_u32_e64 v16, s0, 0, v16, s0
	v_cmp_gt_i32_e64 s0, 31, v12
	s_delay_alu instid0(VALU_DEP_3) | instskip(NEXT) | instid1(VALU_DEP_2)
	v_cndmask_b32_e64 v14, 0, 1, s4
	v_cndmask_b32_e64 v16, 0x7c00, v16, s0
	v_cmp_eq_u32_e64 s0, 0x40f, v12
	s_delay_alu instid0(VALU_DEP_3) | instskip(NEXT) | instid1(VALU_DEP_2)
	v_lshl_or_b32 v14, v14, 9, 0x7c00
	v_cndmask_b32_e64 v12, v16, v17, s0
	v_and_b32_e32 v16, 7, v2
	v_lshrrev_b32_e32 v2, 2, v2
	s_delay_alu instid0(VALU_DEP_2) | instskip(SKIP_2) | instid1(VALU_DEP_2)
	v_cmp_lt_i32_e64 s0, 5, v16
	v_cmp_eq_u32_e64 s2, 3, v16
	v_lshrrev_b32_e32 v16, 16, v29
	s_or_b32 s0, s2, s0
	s_delay_alu instid0(VALU_DEP_1) | instskip(SKIP_2) | instid1(VALU_DEP_1)
	v_and_or_b32 v12, 0x8000, v16, v12
	v_add_co_ci_u32_e64 v2, s0, 0, v2, s0
	v_cmp_gt_i32_e64 s0, 31, v15
	v_cndmask_b32_e64 v2, 0x7c00, v2, s0
	v_cmp_eq_u32_e64 s0, 0x40f, v15
	s_delay_alu instid0(VALU_DEP_1) | instskip(SKIP_1) | instid1(VALU_DEP_1)
	v_cndmask_b32_e64 v2, v2, v14, s0
	v_add_co_u32 v16, s0, v24, s14
	v_add_co_ci_u32_e64 v17, s0, s15, v25, s0
	s_delay_alu instid0(VALU_DEP_3) | instskip(SKIP_1) | instid1(VALU_DEP_1)
	v_and_or_b32 v2, 0x8000, v11, v2
	v_and_b32_e32 v11, 0xffff, v12
	v_lshl_or_b32 v2, v2, 16, v11
	ds_load_2addr_b32 v[11:12], v79 offset0:16 offset1:76
	global_store_b32 v[24:25], v2, off
	s_waitcnt lgkmcnt(0)
	v_lshrrev_b32_e32 v35, 16, v11
	v_mul_f16_e32 v2, v37, v11
	s_delay_alu instid0(VALU_DEP_1) | instskip(NEXT) | instid1(VALU_DEP_1)
	v_fma_f16 v2, v162, v35, -v2
	v_cvt_f32_f16_e32 v2, v2
	s_delay_alu instid0(VALU_DEP_1) | instskip(NEXT) | instid1(VALU_DEP_1)
	v_cvt_f64_f32_e32 v[14:15], v2
	v_mul_f64 v[14:15], v[14:15], s[10:11]
	s_delay_alu instid0(VALU_DEP_1) | instskip(SKIP_3) | instid1(VALU_DEP_4)
	v_and_or_b32 v2, 0x1ff, v15, v14
	v_lshrrev_b32_e32 v14, 8, v15
	v_bfe_u32 v29, v15, 20, 11
	v_lshrrev_b32_e32 v15, 16, v15
	v_cmp_ne_u32_e64 s0, 0, v2
	s_delay_alu instid0(VALU_DEP_1) | instskip(NEXT) | instid1(VALU_DEP_1)
	v_cndmask_b32_e64 v2, 0, 1, s0
	v_and_or_b32 v28, 0xffe, v14, v2
	v_sub_nc_u32_e32 v2, 0x3f1, v29
	v_add_nc_u32_e32 v29, 0xfffffc10, v29
	s_delay_alu instid0(VALU_DEP_3) | instskip(NEXT) | instid1(VALU_DEP_3)
	v_or_b32_e32 v14, 0x1000, v28
	v_med3_i32 v2, v2, 0, 13
	s_delay_alu instid0(VALU_DEP_1) | instskip(NEXT) | instid1(VALU_DEP_1)
	v_lshrrev_b32_e32 v30, v2, v14
	v_lshlrev_b32_e32 v2, v2, v30
	s_delay_alu instid0(VALU_DEP_1) | instskip(SKIP_2) | instid1(VALU_DEP_2)
	v_cmp_ne_u32_e64 s2, v2, v14
	v_mul_f16_e32 v2, v36, v31
	v_lshrrev_b32_e32 v36, 16, v160
	v_fmac_f16_e64 v2, v167, v9
	s_delay_alu instid0(VALU_DEP_1) | instskip(NEXT) | instid1(VALU_DEP_1)
	v_cvt_f32_f16_e32 v2, v2
	v_cvt_f64_f32_e32 v[24:25], v2
	s_delay_alu instid0(VALU_DEP_1) | instskip(NEXT) | instid1(VALU_DEP_1)
	v_mul_f64 v[24:25], v[24:25], s[10:11]
	v_and_or_b32 v2, 0x1ff, v25, v24
	v_lshrrev_b32_e32 v9, 8, v25
	s_delay_alu instid0(VALU_DEP_2) | instskip(NEXT) | instid1(VALU_DEP_1)
	v_cmp_ne_u32_e64 s0, 0, v2
	v_cndmask_b32_e64 v2, 0, 1, s0
	s_delay_alu instid0(VALU_DEP_1) | instskip(SKIP_1) | instid1(VALU_DEP_2)
	v_and_or_b32 v2, 0xffe, v9, v2
	v_bfe_u32 v9, v25, 20, 11
	v_or_b32_e32 v24, 0x1000, v2
	s_delay_alu instid0(VALU_DEP_2) | instskip(SKIP_2) | instid1(VALU_DEP_3)
	v_sub_nc_u32_e32 v14, 0x3f1, v9
	v_add_nc_u32_e32 v9, 0xfffffc10, v9
	v_cmp_ne_u32_e64 s5, 0, v2
	v_med3_i32 v14, v14, 0, 13
	s_delay_alu instid0(VALU_DEP_1) | instskip(NEXT) | instid1(VALU_DEP_1)
	v_lshrrev_b32_e32 v31, v14, v24
	v_lshlrev_b32_e32 v14, v14, v31
	s_delay_alu instid0(VALU_DEP_1) | instskip(SKIP_2) | instid1(VALU_DEP_3)
	v_cmp_ne_u32_e64 s0, v14, v24
	v_lshl_or_b32 v24, v9, 12, v2
	v_cndmask_b32_e64 v2, 0, 1, s3
	v_cndmask_b32_e64 v14, 0, 1, s0
	v_cmp_gt_i32_e64 s0, 1, v9
	s_delay_alu instid0(VALU_DEP_3) | instskip(NEXT) | instid1(VALU_DEP_3)
	v_or_b32_e32 v2, v33, v2
	v_or_b32_e32 v14, v31, v14
	s_delay_alu instid0(VALU_DEP_1) | instskip(NEXT) | instid1(VALU_DEP_1)
	v_cndmask_b32_e64 v14, v24, v14, s0
	v_and_b32_e32 v24, 7, v14
	v_lshrrev_b32_e32 v14, 2, v14
	s_delay_alu instid0(VALU_DEP_2) | instskip(SKIP_2) | instid1(VALU_DEP_2)
	v_cmp_lt_i32_e64 s0, 5, v24
	v_cmp_eq_u32_e64 s4, 3, v24
	v_add_nc_u32_e32 v24, 0xfffffc10, v32
	s_or_b32 s0, s4, s0
	s_delay_alu instid0(VALU_DEP_1) | instskip(SKIP_4) | instid1(VALU_DEP_4)
	v_lshl_or_b32 v31, v24, 12, v6
	v_cmp_gt_i32_e64 s3, 1, v24
	v_add_co_ci_u32_e64 v14, s0, 0, v14, s0
	v_cmp_gt_i32_e64 s0, 31, v9
	v_cmp_ne_u32_e64 s4, 0, v6
	v_cndmask_b32_e64 v2, v31, v2, s3
	v_cndmask_b32_e64 v31, 0, 1, s5
	s_delay_alu instid0(VALU_DEP_4) | instskip(SKIP_2) | instid1(VALU_DEP_4)
	v_cndmask_b32_e64 v14, 0x7c00, v14, s0
	v_cmp_eq_u32_e64 s0, 0x40f, v9
	v_cndmask_b32_e64 v6, 0, 1, s4
	v_lshl_or_b32 v31, v31, 9, 0x7c00
	s_delay_alu instid0(VALU_DEP_2) | instskip(NEXT) | instid1(VALU_DEP_2)
	v_lshl_or_b32 v6, v6, 9, 0x7c00
	v_cndmask_b32_e64 v9, v14, v31, s0
	v_and_b32_e32 v14, 7, v2
	v_lshrrev_b32_e32 v2, 2, v2
	s_delay_alu instid0(VALU_DEP_2) | instskip(SKIP_2) | instid1(VALU_DEP_2)
	v_cmp_lt_i32_e64 s0, 5, v14
	v_cmp_eq_u32_e64 s3, 3, v14
	v_lshrrev_b32_e32 v14, 16, v25
	s_or_b32 s0, s3, s0
	s_delay_alu instid0(SALU_CYCLE_1) | instskip(SKIP_1) | instid1(VALU_DEP_1)
	v_add_co_ci_u32_e64 v2, s0, 0, v2, s0
	v_cmp_gt_i32_e64 s0, 31, v24
	v_cndmask_b32_e64 v2, 0x7c00, v2, s0
	v_cmp_eq_u32_e64 s0, 0x40f, v24
	s_delay_alu instid0(VALU_DEP_1) | instskip(SKIP_3) | instid1(VALU_DEP_1)
	v_cndmask_b32_e64 v2, v2, v6, s0
	v_lshrrev_b32_e32 v6, 16, v7
	v_and_or_b32 v7, 0x8000, v14, v9
	v_add_co_u32 v31, s0, v16, s14
	v_add_co_ci_u32_e64 v32, s0, s15, v17, s0
	s_delay_alu instid0(VALU_DEP_4) | instskip(NEXT) | instid1(VALU_DEP_4)
	v_and_or_b32 v2, 0x8000, v6, v2
	v_and_b32_e32 v6, 0xffff, v7
	s_delay_alu instid0(VALU_DEP_1)
	v_lshl_or_b32 v2, v2, 16, v6
	ds_load_2addr_b32 v[6:7], v79 offset0:136 offset1:232
	global_store_b32 v[16:17], v2, off
	s_waitcnt lgkmcnt(0)
	v_lshrrev_b32_e32 v24, 16, v7
	v_mul_f16_e32 v2, v36, v7
	s_delay_alu instid0(VALU_DEP_1) | instskip(SKIP_1) | instid1(VALU_DEP_2)
	v_fma_f16 v2, v160, v24, -v2
	v_mul_f16_e32 v24, v36, v24
	v_cvt_f32_f16_e32 v2, v2
	s_delay_alu instid0(VALU_DEP_2) | instskip(NEXT) | instid1(VALU_DEP_2)
	v_fmac_f16_e64 v24, v160, v7
	v_cvt_f64_f32_e32 v[16:17], v2
	s_delay_alu instid0(VALU_DEP_2) | instskip(NEXT) | instid1(VALU_DEP_2)
	v_cvt_f32_f16_e32 v7, v24
	v_mul_f64 v[16:17], v[16:17], s[10:11]
	s_delay_alu instid0(VALU_DEP_1) | instskip(SKIP_1) | instid1(VALU_DEP_2)
	v_and_or_b32 v2, 0x1ff, v17, v16
	v_lshrrev_b32_e32 v9, 8, v17
	v_cmp_ne_u32_e64 s0, 0, v2
	s_delay_alu instid0(VALU_DEP_1) | instskip(NEXT) | instid1(VALU_DEP_1)
	v_cndmask_b32_e64 v2, 0, 1, s0
	v_and_or_b32 v2, 0xffe, v9, v2
	v_bfe_u32 v9, v17, 20, 11
	s_delay_alu instid0(VALU_DEP_2) | instskip(NEXT) | instid1(VALU_DEP_2)
	v_or_b32_e32 v16, 0x1000, v2
	v_sub_nc_u32_e32 v14, 0x3f1, v9
	v_add_nc_u32_e32 v9, 0xfffffc10, v9
	s_delay_alu instid0(VALU_DEP_2) | instskip(NEXT) | instid1(VALU_DEP_1)
	v_med3_i32 v14, v14, 0, 13
	v_lshrrev_b32_e32 v25, v14, v16
	s_delay_alu instid0(VALU_DEP_1) | instskip(NEXT) | instid1(VALU_DEP_1)
	v_lshlrev_b32_e32 v14, v14, v25
	v_cmp_ne_u32_e64 s0, v14, v16
	v_mul_f16_e32 v14, v34, v18
	s_delay_alu instid0(VALU_DEP_1) | instskip(NEXT) | instid1(VALU_DEP_1)
	v_fmac_f16_e64 v14, v164, v4
	v_cvt_f32_f16_e32 v4, v14
	s_delay_alu instid0(VALU_DEP_1) | instskip(NEXT) | instid1(VALU_DEP_1)
	v_cvt_f64_f32_e32 v[33:34], v4
	v_mul_f64 v[33:34], v[33:34], s[10:11]
	s_delay_alu instid0(VALU_DEP_1) | instskip(SKIP_1) | instid1(VALU_DEP_2)
	v_and_or_b32 v4, 0x1ff, v34, v33
	v_lshrrev_b32_e32 v14, 8, v34
	v_cmp_ne_u32_e64 s3, 0, v4
	s_delay_alu instid0(VALU_DEP_1) | instskip(NEXT) | instid1(VALU_DEP_1)
	v_cndmask_b32_e64 v4, 0, 1, s3
	v_and_or_b32 v4, 0xffe, v14, v4
	v_bfe_u32 v14, v34, 20, 11
	s_delay_alu instid0(VALU_DEP_2) | instskip(NEXT) | instid1(VALU_DEP_2)
	v_or_b32_e32 v18, 0x1000, v4
	v_sub_nc_u32_e32 v16, 0x3f1, v14
	v_add_nc_u32_e32 v14, 0xfffffc10, v14
	s_delay_alu instid0(VALU_DEP_2) | instskip(NEXT) | instid1(VALU_DEP_1)
	v_med3_i32 v16, v16, 0, 13
	v_lshrrev_b32_e32 v33, v16, v18
	s_delay_alu instid0(VALU_DEP_1) | instskip(NEXT) | instid1(VALU_DEP_1)
	v_lshlrev_b32_e32 v16, v16, v33
	v_cmp_ne_u32_e64 s3, v16, v18
	v_lshl_or_b32 v18, v14, 12, v4
	s_delay_alu instid0(VALU_DEP_2) | instskip(SKIP_1) | instid1(VALU_DEP_2)
	v_cndmask_b32_e64 v16, 0, 1, s3
	v_cmp_gt_i32_e64 s3, 1, v14
	v_or_b32_e32 v16, v33, v16
	s_delay_alu instid0(VALU_DEP_1) | instskip(NEXT) | instid1(VALU_DEP_1)
	v_cndmask_b32_e64 v16, v18, v16, s3
	v_and_b32_e32 v18, 7, v16
	v_lshrrev_b32_e32 v16, 2, v16
	s_delay_alu instid0(VALU_DEP_2) | instskip(SKIP_4) | instid1(VALU_DEP_4)
	v_cmp_lt_i32_e64 s3, 5, v18
	v_cmp_eq_u32_e64 s4, 3, v18
	v_cndmask_b32_e64 v18, 0, 1, s1
	v_cmp_ne_u32_e64 s1, 0, v4
	v_add_nc_u32_e32 v4, 0xfffffc10, v26
	s_or_b32 s3, s4, s3
	s_delay_alu instid0(VALU_DEP_3) | instskip(SKIP_1) | instid1(VALU_DEP_3)
	v_or_b32_e32 v18, v27, v18
	v_add_co_ci_u32_e64 v16, s3, 0, v16, s3
	v_lshl_or_b32 v26, v4, 12, v19
	v_cmp_gt_i32_e64 s5, 1, v4
	v_cmp_gt_i32_e64 s3, 31, v14
	v_cmp_ne_u32_e64 s4, 0, v19
	s_delay_alu instid0(VALU_DEP_3) | instskip(SKIP_1) | instid1(VALU_DEP_4)
	v_cndmask_b32_e64 v18, v26, v18, s5
	v_cndmask_b32_e64 v26, 0, 1, s1
	v_cndmask_b32_e64 v16, 0x7c00, v16, s3
	v_cmp_eq_u32_e64 s1, 0x40f, v14
	v_cndmask_b32_e64 v19, 0, 1, s4
	s_delay_alu instid0(VALU_DEP_4) | instskip(NEXT) | instid1(VALU_DEP_2)
	v_lshl_or_b32 v26, v26, 9, 0x7c00
	v_lshl_or_b32 v19, v19, 9, 0x7c00
	s_delay_alu instid0(VALU_DEP_2) | instskip(SKIP_2) | instid1(VALU_DEP_2)
	v_cndmask_b32_e64 v14, v16, v26, s1
	v_and_b32_e32 v16, 7, v18
	v_lshrrev_b32_e32 v18, 2, v18
	v_cmp_lt_i32_e64 s1, 5, v16
	v_cmp_eq_u32_e64 s3, 3, v16
	v_lshrrev_b32_e32 v16, 16, v34
	s_delay_alu instid0(VALU_DEP_2) | instskip(NEXT) | instid1(VALU_DEP_1)
	s_or_b32 s1, s3, s1
	v_and_or_b32 v14, 0x8000, v16, v14
	v_add_co_ci_u32_e64 v18, s1, 0, v18, s1
	v_cmp_gt_i32_e64 s1, 31, v4
	s_delay_alu instid0(VALU_DEP_1) | instskip(SKIP_1) | instid1(VALU_DEP_1)
	v_cndmask_b32_e64 v18, 0x7c00, v18, s1
	v_cmp_eq_u32_e64 s1, 0x40f, v4
	v_cndmask_b32_e64 v4, v18, v19, s1
	v_lshrrev_b32_e32 v18, 16, v163
	v_add_co_u32 v26, s1, v31, s14
	s_delay_alu instid0(VALU_DEP_1) | instskip(NEXT) | instid1(VALU_DEP_4)
	v_add_co_ci_u32_e64 v27, s1, s15, v32, s1
	v_and_or_b32 v4, 0x8000, v13, v4
	v_and_b32_e32 v13, 0xffff, v14
	s_delay_alu instid0(VALU_DEP_1)
	v_lshl_or_b32 v4, v4, 16, v13
	ds_load_2addr_b32 v[13:14], v76 offset0:192 offset1:252
	global_store_b32 v[31:32], v4, off
	s_waitcnt lgkmcnt(0)
	v_lshrrev_b32_e32 v4, 16, v13
	v_mul_f16_e32 v16, v18, v13
	s_delay_alu instid0(VALU_DEP_2) | instskip(NEXT) | instid1(VALU_DEP_2)
	v_mul_f16_e32 v18, v18, v4
	v_fma_f16 v33, v163, v4, -v16
	s_delay_alu instid0(VALU_DEP_2) | instskip(NEXT) | instid1(VALU_DEP_1)
	v_fmac_f16_e64 v18, v163, v13
	v_cvt_f32_f16_e32 v4, v18
	s_delay_alu instid0(VALU_DEP_1) | instskip(NEXT) | instid1(VALU_DEP_1)
	v_cvt_f64_f32_e32 v[18:19], v4
	v_mul_f64 v[18:19], v[18:19], s[10:11]
	s_delay_alu instid0(VALU_DEP_1) | instskip(SKIP_1) | instid1(VALU_DEP_2)
	v_and_or_b32 v4, 0x1ff, v19, v18
	v_lshrrev_b32_e32 v13, 8, v19
	v_cmp_ne_u32_e64 s1, 0, v4
	s_delay_alu instid0(VALU_DEP_1) | instskip(NEXT) | instid1(VALU_DEP_1)
	v_cndmask_b32_e64 v4, 0, 1, s1
	v_and_or_b32 v4, 0xffe, v13, v4
	v_bfe_u32 v13, v19, 20, 11
	s_delay_alu instid0(VALU_DEP_2) | instskip(NEXT) | instid1(VALU_DEP_2)
	v_or_b32_e32 v18, 0x1000, v4
	v_sub_nc_u32_e32 v16, 0x3f1, v13
	v_add_nc_u32_e32 v13, 0xfffffc10, v13
	s_delay_alu instid0(VALU_DEP_2) | instskip(NEXT) | instid1(VALU_DEP_1)
	v_med3_i32 v16, v16, 0, 13
	v_lshrrev_b32_e32 v34, v16, v18
	s_delay_alu instid0(VALU_DEP_1) | instskip(NEXT) | instid1(VALU_DEP_1)
	v_lshlrev_b32_e32 v16, v16, v34
	v_cmp_ne_u32_e64 s1, v16, v18
	v_mul_f16_e32 v16, v37, v35
	s_delay_alu instid0(VALU_DEP_1) | instskip(NEXT) | instid1(VALU_DEP_1)
	v_fmac_f16_e64 v16, v162, v11
	v_cvt_f32_f16_e32 v11, v16
	s_delay_alu instid0(VALU_DEP_1) | instskip(NEXT) | instid1(VALU_DEP_1)
	v_cvt_f64_f32_e32 v[31:32], v11
	v_mul_f64 v[31:32], v[31:32], s[10:11]
	s_delay_alu instid0(VALU_DEP_1) | instskip(SKIP_1) | instid1(VALU_DEP_2)
	v_and_or_b32 v11, 0x1ff, v32, v31
	v_lshrrev_b32_e32 v16, 8, v32
	v_cmp_ne_u32_e64 s3, 0, v11
	s_delay_alu instid0(VALU_DEP_1) | instskip(NEXT) | instid1(VALU_DEP_1)
	v_cndmask_b32_e64 v11, 0, 1, s3
	v_and_or_b32 v11, 0xffe, v16, v11
	v_bfe_u32 v16, v32, 20, 11
	s_delay_alu instid0(VALU_DEP_2) | instskip(NEXT) | instid1(VALU_DEP_2)
	v_or_b32_e32 v31, 0x1000, v11
	v_sub_nc_u32_e32 v18, 0x3f1, v16
	v_add_nc_u32_e32 v16, 0xfffffc10, v16
	v_cmp_ne_u32_e64 s5, 0, v11
	s_delay_alu instid0(VALU_DEP_3) | instskip(NEXT) | instid1(VALU_DEP_1)
	v_med3_i32 v18, v18, 0, 13
	v_lshrrev_b32_e32 v35, v18, v31
	s_delay_alu instid0(VALU_DEP_1) | instskip(NEXT) | instid1(VALU_DEP_1)
	v_lshlrev_b32_e32 v18, v18, v35
	v_cmp_ne_u32_e64 s3, v18, v31
	v_lshl_or_b32 v31, v16, 12, v11
	v_cndmask_b32_e64 v11, 0, 1, s2
	v_cmp_gt_i32_e64 s2, 1, v29
	s_delay_alu instid0(VALU_DEP_4) | instskip(SKIP_1) | instid1(VALU_DEP_4)
	v_cndmask_b32_e64 v18, 0, 1, s3
	v_cmp_gt_i32_e64 s3, 1, v16
	v_or_b32_e32 v11, v30, v11
	v_lshl_or_b32 v30, v29, 12, v28
	s_delay_alu instid0(VALU_DEP_4) | instskip(NEXT) | instid1(VALU_DEP_2)
	v_or_b32_e32 v18, v35, v18
	v_cndmask_b32_e64 v11, v30, v11, s2
	v_cndmask_b32_e64 v30, 0, 1, s5
	s_delay_alu instid0(VALU_DEP_3) | instskip(NEXT) | instid1(VALU_DEP_2)
	v_cndmask_b32_e64 v18, v31, v18, s3
	v_lshl_or_b32 v30, v30, 9, 0x7c00
	s_delay_alu instid0(VALU_DEP_2) | instskip(SKIP_1) | instid1(VALU_DEP_2)
	v_and_b32_e32 v31, 7, v18
	v_lshrrev_b32_e32 v18, 2, v18
	v_cmp_lt_i32_e64 s3, 5, v31
	v_cmp_eq_u32_e64 s4, 3, v31
	s_delay_alu instid0(VALU_DEP_1) | instskip(SKIP_3) | instid1(VALU_DEP_3)
	s_or_b32 s2, s4, s3
	v_cmp_ne_u32_e64 s4, 0, v28
	v_add_co_ci_u32_e64 v18, s2, 0, v18, s2
	v_cmp_gt_i32_e64 s2, 31, v16
	v_cndmask_b32_e64 v28, 0, 1, s4
	s_delay_alu instid0(VALU_DEP_2) | instskip(SKIP_1) | instid1(VALU_DEP_3)
	v_cndmask_b32_e64 v18, 0x7c00, v18, s2
	v_cmp_eq_u32_e64 s2, 0x40f, v16
	v_lshl_or_b32 v28, v28, 9, 0x7c00
	s_delay_alu instid0(VALU_DEP_2) | instskip(SKIP_3) | instid1(VALU_DEP_3)
	v_cndmask_b32_e64 v16, v18, v30, s2
	v_lshrrev_b32_e32 v18, 16, v32
	v_and_b32_e32 v30, 7, v11
	v_lshrrev_b32_e32 v11, 2, v11
	v_and_or_b32 v16, 0x8000, v18, v16
	scratch_load_b32 v18, off, off offset:180 ; 4-byte Folded Reload
	v_cmp_lt_i32_e64 s2, 5, v30
	v_cmp_eq_u32_e64 s3, 3, v30
	s_delay_alu instid0(VALU_DEP_1) | instskip(NEXT) | instid1(SALU_CYCLE_1)
	s_or_b32 s2, s3, s2
	v_add_co_ci_u32_e64 v11, s2, 0, v11, s2
	v_cmp_gt_i32_e64 s2, 31, v29
	s_delay_alu instid0(VALU_DEP_1) | instskip(SKIP_1) | instid1(VALU_DEP_1)
	v_cndmask_b32_e64 v11, 0x7c00, v11, s2
	v_cmp_eq_u32_e64 s2, 0x40f, v29
	v_cndmask_b32_e64 v11, v11, v28, s2
	s_delay_alu instid0(VALU_DEP_1) | instskip(SKIP_1) | instid1(VALU_DEP_1)
	v_and_or_b32 v11, 0x8000, v15, v11
	v_and_b32_e32 v15, 0xffff, v16
	v_lshl_or_b32 v11, v11, 16, v15
	v_add_co_u32 v15, s2, v26, s14
	s_delay_alu instid0(VALU_DEP_1) | instskip(SKIP_3) | instid1(VALU_DEP_1)
	v_add_co_ci_u32_e64 v16, s2, s15, v27, s2
	global_store_b32 v[26:27], v11, off
	s_waitcnt vmcnt(0)
	v_mad_u64_u32 v[26:27], null, s12, v18, 0
	v_mov_b32_e32 v11, v27
	s_delay_alu instid0(VALU_DEP_1) | instskip(SKIP_1) | instid1(VALU_DEP_1)
	v_mad_u64_u32 v[27:28], null, s13, v18, v[11:12]
	v_cvt_f32_f16_e32 v11, v33
	v_cvt_f64_f32_e32 v[28:29], v11
	s_delay_alu instid0(VALU_DEP_3) | instskip(NEXT) | instid1(VALU_DEP_1)
	v_lshlrev_b64 v[26:27], 2, v[26:27]
	v_add_co_u32 v26, s3, v22, v26
	s_delay_alu instid0(VALU_DEP_1) | instskip(NEXT) | instid1(VALU_DEP_4)
	v_add_co_ci_u32_e64 v27, s3, v23, v27, s3
	v_mul_f64 v[28:29], v[28:29], s[10:11]
	s_delay_alu instid0(VALU_DEP_1) | instskip(SKIP_1) | instid1(VALU_DEP_2)
	v_and_or_b32 v11, 0x1ff, v29, v28
	v_lshrrev_b32_e32 v18, 8, v29
	v_cmp_ne_u32_e64 s2, 0, v11
	s_delay_alu instid0(VALU_DEP_1) | instskip(NEXT) | instid1(VALU_DEP_1)
	v_cndmask_b32_e64 v11, 0, 1, s2
	v_and_or_b32 v11, 0xffe, v18, v11
	v_bfe_u32 v18, v29, 20, 11
	s_delay_alu instid0(VALU_DEP_2) | instskip(NEXT) | instid1(VALU_DEP_2)
	v_or_b32_e32 v30, 0x1000, v11
	v_sub_nc_u32_e32 v28, 0x3f1, v18
	s_delay_alu instid0(VALU_DEP_1) | instskip(NEXT) | instid1(VALU_DEP_1)
	v_med3_i32 v28, v28, 0, 13
	v_lshrrev_b32_e32 v32, v28, v30
	s_delay_alu instid0(VALU_DEP_1) | instskip(NEXT) | instid1(VALU_DEP_1)
	v_lshlrev_b32_e32 v28, v28, v32
	v_cmp_ne_u32_e64 s2, v28, v30
	v_cvt_f64_f32_e32 v[30:31], v7
	s_delay_alu instid0(VALU_DEP_1) | instskip(NEXT) | instid1(VALU_DEP_1)
	v_mul_f64 v[30:31], v[30:31], s[10:11]
	v_and_or_b32 v7, 0x1ff, v31, v30
	v_lshrrev_b32_e32 v24, 8, v31
	s_delay_alu instid0(VALU_DEP_2) | instskip(NEXT) | instid1(VALU_DEP_1)
	v_cmp_ne_u32_e64 s3, 0, v7
	v_cndmask_b32_e64 v7, 0, 1, s3
	s_delay_alu instid0(VALU_DEP_1) | instskip(SKIP_1) | instid1(VALU_DEP_2)
	v_and_or_b32 v7, 0xffe, v24, v7
	v_bfe_u32 v24, v31, 20, 11
	v_or_b32_e32 v30, 0x1000, v7
	s_delay_alu instid0(VALU_DEP_2) | instskip(SKIP_2) | instid1(VALU_DEP_3)
	v_sub_nc_u32_e32 v28, 0x3f1, v24
	v_add_nc_u32_e32 v24, 0xfffffc10, v24
	v_cmp_ne_u32_e64 s5, 0, v7
	v_med3_i32 v28, v28, 0, 13
	s_delay_alu instid0(VALU_DEP_1) | instskip(NEXT) | instid1(VALU_DEP_1)
	v_lshrrev_b32_e32 v33, v28, v30
	v_lshlrev_b32_e32 v28, v28, v33
	s_delay_alu instid0(VALU_DEP_1) | instskip(SKIP_3) | instid1(VALU_DEP_4)
	v_cmp_ne_u32_e64 s3, v28, v30
	v_lshl_or_b32 v30, v24, 12, v7
	v_cndmask_b32_e64 v7, 0, 1, s0
	v_cmp_gt_i32_e64 s0, 1, v9
	v_cndmask_b32_e64 v28, 0, 1, s3
	v_cmp_gt_i32_e64 s3, 1, v24
	s_delay_alu instid0(VALU_DEP_4) | instskip(SKIP_1) | instid1(VALU_DEP_4)
	v_or_b32_e32 v7, v25, v7
	v_lshl_or_b32 v25, v9, 12, v2
	v_or_b32_e32 v28, v33, v28
	s_delay_alu instid0(VALU_DEP_2) | instskip(NEXT) | instid1(VALU_DEP_2)
	v_cndmask_b32_e64 v7, v25, v7, s0
	v_cndmask_b32_e64 v28, v30, v28, s3
	s_delay_alu instid0(VALU_DEP_1) | instskip(SKIP_2) | instid1(VALU_DEP_3)
	v_and_b32_e32 v30, 7, v28
	v_lshrrev_b32_e32 v25, 2, v28
	v_cndmask_b32_e64 v28, 0, 1, s5
	v_cmp_lt_i32_e64 s3, 5, v30
	v_cmp_eq_u32_e64 s4, 3, v30
	s_delay_alu instid0(VALU_DEP_3) | instskip(NEXT) | instid1(VALU_DEP_2)
	v_lshl_or_b32 v28, v28, 9, 0x7c00
	s_or_b32 s0, s4, s3
	v_cmp_ne_u32_e64 s4, 0, v2
	v_add_co_ci_u32_e64 v25, s0, 0, v25, s0
	v_cmp_gt_i32_e64 s0, 31, v24
	v_lshrrev_b32_e32 v2, 2, v7
	s_delay_alu instid0(VALU_DEP_2) | instskip(SKIP_1) | instid1(VALU_DEP_1)
	v_cndmask_b32_e64 v25, 0x7c00, v25, s0
	v_cmp_eq_u32_e64 s0, 0x40f, v24
	v_cndmask_b32_e64 v24, v25, v28, s0
	v_and_b32_e32 v28, 7, v7
	v_cndmask_b32_e64 v7, 0, 1, s4
	v_lshrrev_b32_e32 v25, 16, v31
	s_delay_alu instid0(VALU_DEP_3) | instskip(SKIP_1) | instid1(VALU_DEP_4)
	v_cmp_lt_i32_e64 s0, 5, v28
	v_cmp_eq_u32_e64 s3, 3, v28
	v_lshl_or_b32 v7, v7, 9, 0x7c00
	s_delay_alu instid0(VALU_DEP_2) | instskip(NEXT) | instid1(SALU_CYCLE_1)
	s_or_b32 s0, s3, s0
	v_add_co_ci_u32_e64 v2, s0, 0, v2, s0
	v_cmp_gt_i32_e64 s0, 31, v9
	s_delay_alu instid0(VALU_DEP_1) | instskip(SKIP_2) | instid1(VALU_DEP_2)
	v_cndmask_b32_e64 v2, 0x7c00, v2, s0
	v_cmp_eq_u32_e64 s0, 0x40f, v9
	v_cndmask_b32_e64 v9, 0, 1, s1
	v_cndmask_b32_e64 v2, v2, v7, s0
	v_lshrrev_b32_e32 v7, 16, v17
	s_delay_alu instid0(VALU_DEP_3) | instskip(SKIP_2) | instid1(VALU_DEP_4)
	v_or_b32_e32 v9, v34, v9
	v_lshl_or_b32 v17, v13, 12, v4
	v_cmp_gt_i32_e64 s0, 1, v13
	v_and_or_b32 v2, 0x8000, v7, v2
	s_delay_alu instid0(VALU_DEP_2) | instskip(SKIP_1) | instid1(VALU_DEP_2)
	v_cndmask_b32_e64 v9, v17, v9, s0
	v_and_or_b32 v17, 0x8000, v25, v24
	v_and_b32_e32 v7, 7, v9
	v_lshrrev_b32_e32 v9, 2, v9
	s_delay_alu instid0(VALU_DEP_2) | instskip(SKIP_4) | instid1(VALU_DEP_4)
	v_cmp_lt_i32_e64 s0, 5, v7
	v_cmp_eq_u32_e64 s1, 3, v7
	v_cndmask_b32_e64 v7, 0, 1, s2
	v_cmp_ne_u32_e64 s2, 0, v4
	v_add_nc_u32_e32 v4, 0xfffffc10, v18
	s_or_b32 s0, s1, s0
	s_delay_alu instid0(VALU_DEP_3) | instskip(SKIP_1) | instid1(VALU_DEP_3)
	v_or_b32_e32 v7, v32, v7
	v_add_co_ci_u32_e64 v9, s0, 0, v9, s0
	v_lshl_or_b32 v18, v4, 12, v11
	v_cmp_gt_i32_e64 s3, 1, v4
	v_cmp_gt_i32_e64 s0, 31, v13
	s_delay_alu instid0(VALU_DEP_2) | instskip(SKIP_1) | instid1(VALU_DEP_3)
	v_cndmask_b32_e64 v7, v18, v7, s3
	v_cndmask_b32_e64 v18, 0, 1, s2
	;; [unrolled: 1-line block ×3, first 2 shown]
	v_cmp_eq_u32_e64 s0, 0x40f, v13
	v_cmp_ne_u32_e64 s2, 0, v11
	v_and_b32_e32 v13, 7, v7
	v_lshl_or_b32 v18, v18, 9, 0x7c00
	v_lshrrev_b32_e32 v7, 2, v7
	s_delay_alu instid0(VALU_DEP_4) | instskip(NEXT) | instid1(VALU_DEP_4)
	v_cndmask_b32_e64 v11, 0, 1, s2
	v_cmp_eq_u32_e64 s1, 3, v13
	s_delay_alu instid0(VALU_DEP_4) | instskip(SKIP_3) | instid1(VALU_DEP_3)
	v_cndmask_b32_e64 v9, v9, v18, s0
	v_cmp_lt_i32_e64 s0, 5, v13
	v_lshrrev_b32_e32 v13, 16, v19
	v_lshl_or_b32 v11, v11, 9, 0x7c00
	s_or_b32 s0, s1, s0
	s_delay_alu instid0(VALU_DEP_2) | instskip(SKIP_2) | instid1(VALU_DEP_1)
	v_and_or_b32 v9, 0x8000, v13, v9
	v_add_co_ci_u32_e64 v7, s0, 0, v7, s0
	v_cmp_gt_i32_e64 s0, 31, v4
	v_cndmask_b32_e64 v7, 0x7c00, v7, s0
	v_cmp_eq_u32_e64 s0, 0x40f, v4
	s_delay_alu instid0(VALU_DEP_1) | instskip(SKIP_2) | instid1(VALU_DEP_2)
	v_cndmask_b32_e64 v4, v7, v11, s0
	v_lshrrev_b32_e32 v7, 16, v29
	v_and_b32_e32 v11, 0xffff, v17
	v_and_or_b32 v4, 0x8000, v7, v4
	v_and_b32_e32 v7, 0xffff, v9
	s_delay_alu instid0(VALU_DEP_3) | instskip(NEXT) | instid1(VALU_DEP_2)
	v_lshl_or_b32 v2, v2, 16, v11
	v_lshl_or_b32 v4, v4, 16, v7
	global_store_b32 v[15:16], v2, off
	global_store_b32 v[26:27], v4, off
	s_clause 0x6
	scratch_load_b32 v4, off, off offset:164
	scratch_load_b32 v36, off, off offset:168
	;; [unrolled: 1-line block ×7, first 2 shown]
	s_waitcnt vmcnt(6)
	v_mad_u64_u32 v[17:18], null, s12, v4, 0
	s_delay_alu instid0(VALU_DEP_1) | instskip(NEXT) | instid1(VALU_DEP_1)
	v_mov_b32_e32 v2, v18
	v_mad_u64_u32 v[18:19], null, s13, v4, v[2:3]
	scratch_load_b32 v4, off, off offset:176 ; 4-byte Folded Reload
	v_lshrrev_b32_e32 v2, 16, v5
	v_lshlrev_b64 v[17:18], 2, v[17:18]
	s_delay_alu instid0(VALU_DEP_1) | instskip(NEXT) | instid1(VALU_DEP_1)
	v_add_co_u32 v17, s0, v22, v17
	v_add_co_ci_u32_e64 v18, s0, v23, v18, s0
	s_waitcnt vmcnt(0)
	v_mul_f16_e32 v9, v4, v2
	v_mul_f16_e32 v4, v4, v5
	s_delay_alu instid0(VALU_DEP_2) | instskip(NEXT) | instid1(VALU_DEP_2)
	v_fmac_f16_e32 v9, v7, v5
	v_fma_f16 v2, v7, v2, -v4
	ds_load_2addr_b32 v[4:5], v20 offset0:56 offset1:152
	v_cvt_f32_f16_e32 v9, v9
	v_cvt_f32_f16_e32 v2, v2
	s_waitcnt lgkmcnt(0)
	v_lshrrev_b32_e32 v11, 16, v5
	v_mul_f16_e32 v7, v36, v5
	s_delay_alu instid0(VALU_DEP_1) | instskip(SKIP_1) | instid1(VALU_DEP_2)
	v_fma_f16 v7, v35, v11, -v7
	v_mul_f16_e32 v11, v36, v11
	v_cvt_f32_f16_e32 v7, v7
	s_delay_alu instid0(VALU_DEP_2) | instskip(NEXT) | instid1(VALU_DEP_2)
	v_fmac_f16_e32 v11, v35, v5
	v_cvt_f64_f32_e32 v[19:20], v7
	s_delay_alu instid0(VALU_DEP_2) | instskip(NEXT) | instid1(VALU_DEP_2)
	v_cvt_f32_f16_e32 v5, v11
	v_mul_f64 v[22:23], v[19:20], s[10:11]
	s_delay_alu instid0(VALU_DEP_1) | instskip(SKIP_2) | instid1(VALU_DEP_3)
	v_and_or_b32 v7, 0x1ff, v23, v22
	v_lshrrev_b32_e32 v13, 8, v23
	v_bfe_u32 v22, v23, 20, 11
	v_cmp_ne_u32_e64 s0, 0, v7
	s_delay_alu instid0(VALU_DEP_1) | instskip(NEXT) | instid1(VALU_DEP_1)
	v_cndmask_b32_e64 v7, 0, 1, s0
	v_and_or_b32 v13, 0xffe, v13, v7
	s_delay_alu instid0(VALU_DEP_4) | instskip(SKIP_1) | instid1(VALU_DEP_3)
	v_sub_nc_u32_e32 v7, 0x3f1, v22
	v_add_nc_u32_e32 v22, 0xfffffc10, v22
	v_or_b32_e32 v19, 0x1000, v13
	s_delay_alu instid0(VALU_DEP_3) | instskip(NEXT) | instid1(VALU_DEP_1)
	v_med3_i32 v7, v7, 0, 13
	v_lshrrev_b32_e32 v28, v7, v19
	s_delay_alu instid0(VALU_DEP_1) | instskip(NEXT) | instid1(VALU_DEP_1)
	v_lshlrev_b32_e32 v7, v7, v28
	v_cmp_ne_u32_e64 s0, v7, v19
	v_cvt_f64_f32_e32 v[19:20], v2
	s_delay_alu instid0(VALU_DEP_1) | instskip(SKIP_4) | instid1(VALU_DEP_3)
	v_mul_f64 v[24:25], v[19:20], s[10:11]
	scratch_load_b32 v20, off, off offset:148 ; 4-byte Folded Reload
	v_and_or_b32 v2, 0x1ff, v25, v24
	v_lshrrev_b32_e32 v7, 8, v25
	v_bfe_u32 v24, v25, 20, 11
	v_cmp_ne_u32_e64 s1, 0, v2
	s_delay_alu instid0(VALU_DEP_1) | instskip(NEXT) | instid1(VALU_DEP_1)
	v_cndmask_b32_e64 v2, 0, 1, s1
	v_and_or_b32 v2, 0xffe, v7, v2
	s_delay_alu instid0(VALU_DEP_4) | instskip(NEXT) | instid1(VALU_DEP_2)
	v_sub_nc_u32_e32 v7, 0x3f1, v24
	v_or_b32_e32 v19, 0x1000, v2
	s_delay_alu instid0(VALU_DEP_2) | instskip(NEXT) | instid1(VALU_DEP_1)
	v_med3_i32 v7, v7, 0, 13
	v_lshrrev_b32_e32 v29, v7, v19
	s_delay_alu instid0(VALU_DEP_1) | instskip(NEXT) | instid1(VALU_DEP_1)
	v_lshlrev_b32_e32 v7, v7, v29
	v_cmp_ne_u32_e64 s2, v7, v19
	scratch_load_b32 v19, off, off offset:172 ; 4-byte Folded Reload
	v_lshrrev_b32_e32 v7, 16, v8
	s_waitcnt vmcnt(0)
	s_delay_alu instid0(VALU_DEP_1) | instskip(SKIP_1) | instid1(VALU_DEP_2)
	v_mul_f16_e32 v30, v19, v7
	v_mul_f16_e32 v19, v19, v8
	v_fmac_f16_e32 v30, v20, v8
	s_delay_alu instid0(VALU_DEP_2) | instskip(SKIP_4) | instid1(VALU_DEP_1)
	v_fma_f16 v31, v20, v7, -v19
	ds_load_2addr_b32 v[19:20], v78 offset0:20 offset1:80
	s_waitcnt lgkmcnt(0)
	v_lshrrev_b32_e32 v32, 16, v19
	v_mul_f16_e32 v7, v39, v19
	v_fma_f16 v7, v37, v32, -v7
	s_delay_alu instid0(VALU_DEP_1) | instskip(NEXT) | instid1(VALU_DEP_1)
	v_cvt_f32_f16_e32 v7, v7
	v_cvt_f64_f32_e32 v[7:8], v7
	s_delay_alu instid0(VALU_DEP_1) | instskip(NEXT) | instid1(VALU_DEP_1)
	v_mul_f64 v[7:8], v[7:8], s[10:11]
	v_and_or_b32 v7, 0x1ff, v8, v7
	v_lshrrev_b32_e32 v26, 8, v8
	v_bfe_u32 v33, v8, 20, 11
	v_lshrrev_b32_e32 v8, 16, v8
	s_delay_alu instid0(VALU_DEP_4) | instskip(NEXT) | instid1(VALU_DEP_1)
	v_cmp_ne_u32_e64 s1, 0, v7
	v_cndmask_b32_e64 v7, 0, 1, s1
	s_delay_alu instid0(VALU_DEP_1) | instskip(SKIP_1) | instid1(VALU_DEP_2)
	v_and_or_b32 v7, 0xffe, v26, v7
	v_sub_nc_u32_e32 v26, 0x3f1, v33
	v_or_b32_e32 v27, 0x1000, v7
	s_delay_alu instid0(VALU_DEP_2) | instskip(NEXT) | instid1(VALU_DEP_1)
	v_med3_i32 v26, v26, 0, 13
	v_lshrrev_b32_e32 v34, v26, v27
	s_delay_alu instid0(VALU_DEP_1) | instskip(NEXT) | instid1(VALU_DEP_1)
	v_lshlrev_b32_e32 v26, v26, v34
	v_cmp_ne_u32_e64 s1, v26, v27
	v_cvt_f64_f32_e32 v[26:27], v5
	s_delay_alu instid0(VALU_DEP_1) | instskip(NEXT) | instid1(VALU_DEP_1)
	v_mul_f64 v[26:27], v[26:27], s[10:11]
	v_and_or_b32 v5, 0x1ff, v27, v26
	v_lshrrev_b32_e32 v11, 8, v27
	s_delay_alu instid0(VALU_DEP_2) | instskip(NEXT) | instid1(VALU_DEP_1)
	v_cmp_ne_u32_e64 s3, 0, v5
	v_cndmask_b32_e64 v5, 0, 1, s3
	s_delay_alu instid0(VALU_DEP_1) | instskip(SKIP_1) | instid1(VALU_DEP_2)
	v_and_or_b32 v5, 0xffe, v11, v5
	v_bfe_u32 v11, v27, 20, 11
	v_or_b32_e32 v35, 0x1000, v5
	s_delay_alu instid0(VALU_DEP_2) | instskip(SKIP_2) | instid1(VALU_DEP_3)
	v_sub_nc_u32_e32 v26, 0x3f1, v11
	v_add_nc_u32_e32 v11, 0xfffffc10, v11
	v_cmp_ne_u32_e64 s4, 0, v5
	v_med3_i32 v26, v26, 0, 13
	s_delay_alu instid0(VALU_DEP_1) | instskip(NEXT) | instid1(VALU_DEP_1)
	v_lshrrev_b32_e32 v36, v26, v35
	v_lshlrev_b32_e32 v26, v26, v36
	s_delay_alu instid0(VALU_DEP_1) | instskip(SKIP_1) | instid1(VALU_DEP_2)
	v_cmp_ne_u32_e64 s3, v26, v35
	v_lshl_or_b32 v35, v11, 12, v5
	v_cndmask_b32_e64 v26, 0, 1, s3
	v_cmp_gt_i32_e64 s3, 1, v11
	s_delay_alu instid0(VALU_DEP_2) | instskip(NEXT) | instid1(VALU_DEP_1)
	v_or_b32_e32 v26, v36, v26
	v_cndmask_b32_e64 v26, v35, v26, s3
	v_cndmask_b32_e64 v35, 0, 1, s0
	v_cmp_gt_i32_e64 s0, 1, v22
	s_delay_alu instid0(VALU_DEP_2) | instskip(SKIP_1) | instid1(VALU_DEP_1)
	v_or_b32_e32 v28, v28, v35
	v_lshl_or_b32 v35, v22, 12, v13
	v_cndmask_b32_e64 v28, v35, v28, s0
	v_and_b32_e32 v35, 7, v26
	s_delay_alu instid0(VALU_DEP_2) | instskip(NEXT) | instid1(VALU_DEP_2)
	v_and_b32_e32 v5, 7, v28
	v_cmp_lt_i32_e64 s0, 5, v35
	v_cmp_eq_u32_e64 s3, 3, v35
	s_delay_alu instid0(VALU_DEP_3) | instskip(SKIP_2) | instid1(VALU_DEP_4)
	v_cmp_lt_i32_e64 s5, 5, v5
	v_cmp_eq_u32_e64 s6, 3, v5
	v_lshrrev_b32_e32 v5, 2, v26
	s_or_b32 s0, s3, s0
	v_cndmask_b32_e64 v26, 0, 1, s4
	s_mul_i32 s4, s12, 0xfffff8a4
	s_or_b32 s3, s6, s5
	v_add_co_ci_u32_e64 v5, s0, 0, v5, s0
	v_cmp_gt_i32_e64 s0, 31, v11
	v_lshl_or_b32 v26, v26, 9, 0x7c00
	s_delay_alu instid0(VALU_DEP_2)
	v_cndmask_b32_e64 v5, 0x7c00, v5, s0
	v_cmp_eq_u32_e64 s0, 0x40f, v11
	v_lshrrev_b32_e32 v11, 16, v27
	scratch_load_b32 v27, off, off offset:160 ; 4-byte Folded Reload
	v_cndmask_b32_e64 v5, v5, v26, s0
	v_cmp_ne_u32_e64 s0, 0, v13
	v_lshrrev_b32_e32 v13, 2, v28
	s_delay_alu instid0(VALU_DEP_3) | instskip(NEXT) | instid1(VALU_DEP_3)
	v_and_or_b32 v5, 0x8000, v11, v5
	v_cndmask_b32_e64 v26, 0, 1, s0
	s_delay_alu instid0(VALU_DEP_3) | instskip(SKIP_2) | instid1(VALU_DEP_4)
	v_add_co_ci_u32_e64 v13, s3, 0, v13, s3
	v_cmp_gt_i32_e64 s3, 31, v22
	v_cmp_eq_u32_e64 s0, 0x40f, v22
	v_lshl_or_b32 v26, v26, 9, 0x7c00
	v_lshrrev_b32_e32 v22, 16, v23
	v_and_b32_e32 v5, 0xffff, v5
	v_cndmask_b32_e64 v13, 0x7c00, v13, s3
	s_mul_i32 s3, s13, 0xfffff8a4
	s_delay_alu instid0(VALU_DEP_1) | instskip(SKIP_1) | instid1(SALU_CYCLE_1)
	v_cndmask_b32_e64 v13, v13, v26, s0
	s_mul_hi_u32 s0, s12, 0xfffff8a4
	s_sub_i32 s0, s0, s12
	s_delay_alu instid0(VALU_DEP_1) | instskip(SKIP_2) | instid1(VALU_DEP_2)
	v_and_or_b32 v11, 0x8000, v22, v13
	v_mad_u64_u32 v[22:23], null, 0x6c0, s12, v[15:16]
	s_add_i32 s5, s0, s3
	v_lshl_or_b32 v5, v11, 16, v5
	s_lshl_b64 s[16:17], s[4:5], 2
	s_delay_alu instid0(VALU_DEP_2) | instskip(NEXT) | instid1(VALU_DEP_3)
	v_add_nc_u32_e32 v23, s9, v23
	v_add_co_u32 v15, s0, v22, s16
	global_store_b32 v[22:23], v5, off
	v_cvt_f32_f16_e32 v5, v31
	v_add_co_ci_u32_e64 v16, s0, s17, v23, s0
	s_delay_alu instid0(VALU_DEP_2) | instskip(NEXT) | instid1(VALU_DEP_1)
	v_cvt_f64_f32_e32 v[22:23], v5
	v_mul_f64 v[22:23], v[22:23], s[10:11]
	s_delay_alu instid0(VALU_DEP_1) | instskip(SKIP_2) | instid1(VALU_DEP_3)
	v_and_or_b32 v5, 0x1ff, v23, v22
	v_lshrrev_b32_e32 v11, 8, v23
	v_bfe_u32 v13, v23, 20, 11
	v_cmp_ne_u32_e64 s0, 0, v5
	s_delay_alu instid0(VALU_DEP_1) | instskip(NEXT) | instid1(VALU_DEP_1)
	v_cndmask_b32_e64 v5, 0, 1, s0
	v_and_or_b32 v5, 0xffe, v11, v5
	s_delay_alu instid0(VALU_DEP_4) | instskip(SKIP_1) | instid1(VALU_DEP_3)
	v_sub_nc_u32_e32 v11, 0x3f1, v13
	v_add_nc_u32_e32 v13, 0xfffffc10, v13
	v_or_b32_e32 v22, 0x1000, v5
	s_delay_alu instid0(VALU_DEP_3) | instskip(NEXT) | instid1(VALU_DEP_1)
	v_med3_i32 v11, v11, 0, 13
	v_lshrrev_b32_e32 v26, v11, v22
	s_delay_alu instid0(VALU_DEP_1) | instskip(NEXT) | instid1(VALU_DEP_1)
	v_lshlrev_b32_e32 v11, v11, v26
	v_cmp_ne_u32_e64 s0, v11, v22
	v_lshrrev_b32_e32 v11, 16, v10
	s_waitcnt vmcnt(0)
	s_delay_alu instid0(VALU_DEP_1) | instskip(SKIP_1) | instid1(VALU_DEP_2)
	v_mul_f16_e32 v22, v27, v11
	v_mul_f16_e32 v27, v27, v10
	v_fmac_f16_e32 v22, v38, v10
	v_cvt_f64_f32_e32 v[9:10], v9
	s_delay_alu instid0(VALU_DEP_1) | instskip(NEXT) | instid1(VALU_DEP_1)
	v_mul_f64 v[9:10], v[9:10], s[10:11]
	v_and_or_b32 v9, 0x1ff, v10, v9
	v_lshrrev_b32_e32 v28, 8, v10
	s_delay_alu instid0(VALU_DEP_2) | instskip(NEXT) | instid1(VALU_DEP_1)
	v_cmp_ne_u32_e64 s3, 0, v9
	v_cndmask_b32_e64 v9, 0, 1, s3
	s_delay_alu instid0(VALU_DEP_1) | instskip(SKIP_2) | instid1(VALU_DEP_3)
	v_and_or_b32 v9, 0xffe, v28, v9
	v_bfe_u32 v28, v10, 20, 11
	v_lshrrev_b32_e32 v10, 16, v10
	v_or_b32_e32 v35, 0x1000, v9
	s_delay_alu instid0(VALU_DEP_3) | instskip(SKIP_1) | instid1(VALU_DEP_2)
	v_sub_nc_u32_e32 v31, 0x3f1, v28
	v_add_nc_u32_e32 v28, 0xfffffc10, v28
	v_med3_i32 v31, v31, 0, 13
	s_delay_alu instid0(VALU_DEP_1) | instskip(NEXT) | instid1(VALU_DEP_1)
	v_lshrrev_b32_e32 v36, v31, v35
	v_lshlrev_b32_e32 v31, v31, v36
	s_delay_alu instid0(VALU_DEP_1) | instskip(SKIP_1) | instid1(VALU_DEP_2)
	v_cmp_ne_u32_e64 s3, v31, v35
	v_lshl_or_b32 v35, v28, 12, v9
	v_cndmask_b32_e64 v31, 0, 1, s3
	v_cmp_gt_i32_e64 s3, 1, v28
	s_delay_alu instid0(VALU_DEP_2) | instskip(SKIP_2) | instid1(VALU_DEP_1)
	v_or_b32_e32 v31, v36, v31
	scratch_load_b32 v36, off, off offset:112 ; 4-byte Folded Reload
	v_cndmask_b32_e64 v31, v35, v31, s3
	v_and_b32_e32 v35, 7, v31
	s_delay_alu instid0(VALU_DEP_1) | instskip(SKIP_4) | instid1(VALU_DEP_4)
	v_cmp_lt_i32_e64 s3, 5, v35
	v_cmp_eq_u32_e64 s4, 3, v35
	v_cndmask_b32_e64 v35, 0, 1, s2
	v_cmp_ne_u32_e64 s2, 0, v9
	v_add_nc_u32_e32 v9, 0xfffffc10, v24
	s_or_b32 s3, s4, s3
	s_delay_alu instid0(VALU_DEP_3) | instskip(SKIP_1) | instid1(VALU_DEP_3)
	v_or_b32_e32 v29, v29, v35
	v_cmp_ne_u32_e64 s4, 0, v2
	v_lshl_or_b32 v24, v9, 12, v2
	v_cmp_gt_i32_e64 s5, 1, v9
	s_delay_alu instid0(VALU_DEP_1) | instskip(SKIP_3) | instid1(VALU_DEP_4)
	v_cndmask_b32_e64 v24, v24, v29, s5
	v_lshrrev_b32_e32 v29, 2, v31
	v_cndmask_b32_e64 v31, 0, 1, s2
	v_cmp_eq_u32_e64 s2, 0x40f, v28
	v_lshrrev_b32_e32 v2, 2, v24
	s_delay_alu instid0(VALU_DEP_4) | instskip(SKIP_2) | instid1(VALU_DEP_2)
	v_add_co_ci_u32_e64 v29, s3, 0, v29, s3
	v_cmp_gt_i32_e64 s3, 31, v28
	v_lshl_or_b32 v31, v31, 9, 0x7c00
	v_cndmask_b32_e64 v29, 0x7c00, v29, s3
	s_delay_alu instid0(VALU_DEP_1) | instskip(SKIP_2) | instid1(VALU_DEP_3)
	v_cndmask_b32_e64 v28, v29, v31, s2
	v_and_b32_e32 v29, 7, v24
	v_cndmask_b32_e64 v24, 0, 1, s4
	v_and_or_b32 v10, 0x8000, v10, v28
	s_delay_alu instid0(VALU_DEP_3) | instskip(SKIP_1) | instid1(VALU_DEP_4)
	v_cmp_lt_i32_e64 s2, 5, v29
	v_cmp_eq_u32_e64 s3, 3, v29
	v_lshl_or_b32 v24, v24, 9, 0x7c00
	s_delay_alu instid0(VALU_DEP_2) | instskip(NEXT) | instid1(SALU_CYCLE_1)
	s_or_b32 s2, s3, s2
	v_add_co_ci_u32_e64 v2, s2, 0, v2, s2
	v_cmp_gt_i32_e64 s2, 31, v9
	s_delay_alu instid0(VALU_DEP_1) | instskip(SKIP_2) | instid1(VALU_DEP_2)
	v_cndmask_b32_e64 v2, 0x7c00, v2, s2
	v_cmp_eq_u32_e64 s2, 0x40f, v9
	v_lshrrev_b32_e32 v9, 16, v25
	v_cndmask_b32_e64 v2, v2, v24, s2
	s_delay_alu instid0(VALU_DEP_1) | instskip(SKIP_1) | instid1(VALU_DEP_1)
	v_and_or_b32 v2, 0x8000, v9, v2
	v_and_b32_e32 v9, 0xffff, v10
	v_lshl_or_b32 v2, v2, 16, v9
	v_add_co_u32 v9, s2, v15, s14
	s_delay_alu instid0(VALU_DEP_1)
	v_add_co_ci_u32_e64 v10, s2, s15, v16, s2
	global_store_b32 v[15:16], v2, off
	v_fma_f16 v2, v38, v11, -v27
	v_mul_f16_e32 v11, v39, v32
	s_clause 0x1
	scratch_load_b32 v32, off, off offset:140
	scratch_load_b32 v38, off, off offset:104
	v_cvt_f32_f16_e32 v2, v2
	v_fmac_f16_e32 v11, v37, v19
	scratch_load_b32 v37, off, off offset:132 ; 4-byte Folded Reload
	v_cvt_f32_f16_e32 v11, v11
	s_delay_alu instid0(VALU_DEP_1) | instskip(NEXT) | instid1(VALU_DEP_1)
	v_cvt_f64_f32_e32 v[15:16], v11
	v_mul_f64 v[15:16], v[15:16], s[10:11]
	s_delay_alu instid0(VALU_DEP_1) | instskip(SKIP_1) | instid1(VALU_DEP_2)
	v_and_or_b32 v11, 0x1ff, v16, v15
	v_lshrrev_b32_e32 v15, 8, v16
	v_cmp_ne_u32_e64 s2, 0, v11
	s_delay_alu instid0(VALU_DEP_1) | instskip(NEXT) | instid1(VALU_DEP_1)
	v_cndmask_b32_e64 v11, 0, 1, s2
	v_and_or_b32 v11, 0xffe, v15, v11
	v_bfe_u32 v15, v16, 20, 11
	s_delay_alu instid0(VALU_DEP_2) | instskip(NEXT) | instid1(VALU_DEP_2)
	v_or_b32_e32 v24, 0x1000, v11
	v_sub_nc_u32_e32 v19, 0x3f1, v15
	v_add_nc_u32_e32 v15, 0xfffffc10, v15
	v_cmp_ne_u32_e64 s3, 0, v11
	s_delay_alu instid0(VALU_DEP_3) | instskip(NEXT) | instid1(VALU_DEP_1)
	v_med3_i32 v19, v19, 0, 13
	v_lshrrev_b32_e32 v25, v19, v24
	s_delay_alu instid0(VALU_DEP_1) | instskip(NEXT) | instid1(VALU_DEP_1)
	v_lshlrev_b32_e32 v19, v19, v25
	v_cmp_ne_u32_e64 s2, v19, v24
	v_lshl_or_b32 v24, v15, 12, v11
	s_delay_alu instid0(VALU_DEP_2) | instskip(SKIP_1) | instid1(VALU_DEP_2)
	v_cndmask_b32_e64 v19, 0, 1, s2
	v_cmp_gt_i32_e64 s2, 1, v15
	v_or_b32_e32 v19, v25, v19
	v_add_nc_u32_e32 v25, 0xfffffc10, v33
	scratch_load_b32 v33, off, off offset:120 ; 4-byte Folded Reload
	v_cndmask_b32_e64 v19, v24, v19, s2
	v_cndmask_b32_e64 v24, 0, 1, s1
	v_lshl_or_b32 v27, v25, 12, v7
	v_cmp_gt_i32_e64 s1, 1, v25
	s_delay_alu instid0(VALU_DEP_3) | instskip(NEXT) | instid1(VALU_DEP_1)
	v_or_b32_e32 v24, v34, v24
	v_cndmask_b32_e64 v24, v27, v24, s1
	v_and_b32_e32 v27, 7, v19
	s_delay_alu instid0(VALU_DEP_2) | instskip(NEXT) | instid1(VALU_DEP_2)
	v_and_b32_e32 v11, 7, v24
	v_cmp_lt_i32_e64 s1, 5, v27
	v_cmp_eq_u32_e64 s2, 3, v27
	s_delay_alu instid0(VALU_DEP_3) | instskip(SKIP_2) | instid1(VALU_DEP_4)
	v_cmp_lt_i32_e64 s4, 5, v11
	v_cmp_eq_u32_e64 s5, 3, v11
	v_lshrrev_b32_e32 v11, 2, v19
	s_or_b32 s1, s2, s1
	v_cndmask_b32_e64 v19, 0, 1, s3
	s_delay_alu instid0(VALU_DEP_3) | instskip(NEXT) | instid1(VALU_DEP_2)
	s_or_b32 s2, s5, s4
	v_add_co_ci_u32_e64 v11, s1, 0, v11, s1
	v_cmp_gt_i32_e64 s1, 31, v15
	s_delay_alu instid0(VALU_DEP_3) | instskip(NEXT) | instid1(VALU_DEP_2)
	v_lshl_or_b32 v19, v19, 9, 0x7c00
	v_cndmask_b32_e64 v11, 0x7c00, v11, s1
	v_cmp_eq_u32_e64 s1, 0x40f, v15
	v_lshrrev_b32_e32 v15, 16, v16
	s_delay_alu instid0(VALU_DEP_2) | instskip(SKIP_2) | instid1(VALU_DEP_3)
	v_cndmask_b32_e64 v11, v11, v19, s1
	v_cmp_ne_u32_e64 s1, 0, v7
	v_lshrrev_b32_e32 v7, 2, v24
	v_and_or_b32 v11, 0x8000, v15, v11
	s_delay_alu instid0(VALU_DEP_3) | instskip(NEXT) | instid1(VALU_DEP_3)
	v_cndmask_b32_e64 v16, 0, 1, s1
	v_add_co_ci_u32_e64 v7, s2, 0, v7, s2
	v_cmp_gt_i32_e64 s2, 31, v25
	v_cmp_eq_u32_e64 s1, 0x40f, v25
	s_delay_alu instid0(VALU_DEP_4) | instskip(NEXT) | instid1(VALU_DEP_3)
	v_lshl_or_b32 v16, v16, 9, 0x7c00
	v_cndmask_b32_e64 v7, 0x7c00, v7, s2
	s_delay_alu instid0(VALU_DEP_1) | instskip(SKIP_3) | instid1(VALU_DEP_1)
	v_cndmask_b32_e64 v7, v7, v16, s1
	ds_load_2addr_b32 v[15:16], v77 offset0:68 offset1:128
	v_and_or_b32 v7, 0x8000, v8, v7
	v_and_b32_e32 v8, 0xffff, v11
	v_lshl_or_b32 v7, v7, 16, v8
	global_store_b32 v[9:10], v7, off
	v_add_co_u32 v7, s1, v9, s14
	s_delay_alu instid0(VALU_DEP_1) | instskip(SKIP_4) | instid1(VALU_DEP_1)
	v_add_co_ci_u32_e64 v8, s1, s15, v10, s1
	s_waitcnt lgkmcnt(0)
	v_lshrrev_b32_e32 v19, 16, v15
	s_waitcnt vmcnt(1)
	v_mul_f16_e32 v9, v37, v15
	v_fma_f16 v9, v36, v19, -v9
	s_delay_alu instid0(VALU_DEP_1) | instskip(NEXT) | instid1(VALU_DEP_1)
	v_cvt_f32_f16_e32 v9, v9
	v_cvt_f64_f32_e32 v[9:10], v9
	s_delay_alu instid0(VALU_DEP_1) | instskip(NEXT) | instid1(VALU_DEP_1)
	v_mul_f64 v[9:10], v[9:10], s[10:11]
	v_and_or_b32 v9, 0x1ff, v10, v9
	v_lshrrev_b32_e32 v11, 8, v10
	v_bfe_u32 v27, v10, 20, 11
	s_delay_alu instid0(VALU_DEP_3) | instskip(NEXT) | instid1(VALU_DEP_1)
	v_cmp_ne_u32_e64 s1, 0, v9
	v_cndmask_b32_e64 v9, 0, 1, s1
	s_delay_alu instid0(VALU_DEP_1) | instskip(NEXT) | instid1(VALU_DEP_4)
	v_and_or_b32 v9, 0xffe, v11, v9
	v_sub_nc_u32_e32 v11, 0x3f1, v27
	s_delay_alu instid0(VALU_DEP_2) | instskip(NEXT) | instid1(VALU_DEP_2)
	v_or_b32_e32 v24, 0x1000, v9
	v_med3_i32 v11, v11, 0, 13
	s_delay_alu instid0(VALU_DEP_1) | instskip(NEXT) | instid1(VALU_DEP_1)
	v_lshrrev_b32_e32 v28, v11, v24
	v_lshlrev_b32_e32 v11, v11, v28
	s_delay_alu instid0(VALU_DEP_1) | instskip(SKIP_1) | instid1(VALU_DEP_1)
	v_cmp_ne_u32_e64 s2, v11, v24
	v_cvt_f64_f32_e32 v[24:25], v2
	v_mul_f64 v[24:25], v[24:25], s[10:11]
	s_delay_alu instid0(VALU_DEP_1) | instskip(SKIP_2) | instid1(VALU_DEP_3)
	v_and_or_b32 v2, 0x1ff, v25, v24
	v_lshrrev_b32_e32 v11, 8, v25
	v_bfe_u32 v24, v25, 20, 11
	v_cmp_ne_u32_e64 s1, 0, v2
	s_delay_alu instid0(VALU_DEP_1) | instskip(NEXT) | instid1(VALU_DEP_1)
	v_cndmask_b32_e64 v2, 0, 1, s1
	v_and_or_b32 v2, 0xffe, v11, v2
	s_delay_alu instid0(VALU_DEP_4) | instskip(SKIP_1) | instid1(VALU_DEP_3)
	v_sub_nc_u32_e32 v11, 0x3f1, v24
	v_add_nc_u32_e32 v24, 0xfffffc10, v24
	v_or_b32_e32 v29, 0x1000, v2
	s_delay_alu instid0(VALU_DEP_3) | instskip(SKIP_1) | instid1(VALU_DEP_2)
	v_med3_i32 v11, v11, 0, 13
	v_cmp_ne_u32_e64 s6, 0, v2
	v_lshrrev_b32_e32 v31, v11, v29
	s_delay_alu instid0(VALU_DEP_1) | instskip(NEXT) | instid1(VALU_DEP_1)
	v_lshlrev_b32_e32 v11, v11, v31
	v_cmp_ne_u32_e64 s1, v11, v29
	v_lshrrev_b32_e32 v11, 16, v12
	s_delay_alu instid0(VALU_DEP_1) | instskip(SKIP_2) | instid1(VALU_DEP_2)
	v_mul_f16_e32 v29, v32, v11
	v_mul_f16_e32 v32, v32, v12
	s_waitcnt vmcnt(0)
	v_fmac_f16_e32 v29, v33, v12
	s_delay_alu instid0(VALU_DEP_2) | instskip(SKIP_1) | instid1(VALU_DEP_1)
	v_fma_f16 v32, v33, v11, -v32
	v_cvt_f32_f16_e32 v11, v30
	v_cvt_f64_f32_e32 v[11:12], v11
	s_delay_alu instid0(VALU_DEP_1) | instskip(NEXT) | instid1(VALU_DEP_1)
	v_mul_f64 v[11:12], v[11:12], s[10:11]
	v_and_or_b32 v11, 0x1ff, v12, v11
	v_lshrrev_b32_e32 v30, 8, v12
	s_delay_alu instid0(VALU_DEP_2) | instskip(NEXT) | instid1(VALU_DEP_1)
	v_cmp_ne_u32_e64 s3, 0, v11
	v_cndmask_b32_e64 v11, 0, 1, s3
	s_delay_alu instid0(VALU_DEP_1) | instskip(SKIP_2) | instid1(VALU_DEP_3)
	v_and_or_b32 v11, 0xffe, v30, v11
	v_bfe_u32 v30, v12, 20, 11
	v_lshrrev_b32_e32 v12, 16, v12
	v_or_b32_e32 v34, 0x1000, v11
	s_delay_alu instid0(VALU_DEP_3) | instskip(SKIP_2) | instid1(VALU_DEP_3)
	v_sub_nc_u32_e32 v33, 0x3f1, v30
	v_add_nc_u32_e32 v30, 0xfffffc10, v30
	v_cmp_ne_u32_e64 s5, 0, v11
	v_med3_i32 v33, v33, 0, 13
	s_delay_alu instid0(VALU_DEP_1) | instskip(NEXT) | instid1(VALU_DEP_1)
	v_lshrrev_b32_e32 v35, v33, v34
	v_lshlrev_b32_e32 v33, v33, v35
	s_delay_alu instid0(VALU_DEP_1) | instskip(SKIP_3) | instid1(VALU_DEP_4)
	v_cmp_ne_u32_e64 s3, v33, v34
	v_lshl_or_b32 v34, v30, 12, v11
	v_cndmask_b32_e64 v11, 0, 1, s0
	v_cmp_gt_i32_e64 s0, 1, v13
	v_cndmask_b32_e64 v33, 0, 1, s3
	v_cmp_gt_i32_e64 s3, 1, v30
	s_delay_alu instid0(VALU_DEP_4) | instskip(SKIP_1) | instid1(VALU_DEP_4)
	v_or_b32_e32 v11, v26, v11
	v_lshl_or_b32 v26, v13, 12, v5
	v_or_b32_e32 v33, v35, v33
	scratch_load_b32 v35, off, off offset:96 ; 4-byte Folded Reload
	v_cndmask_b32_e64 v11, v26, v11, s0
	v_cndmask_b32_e64 v33, v34, v33, s3
	s_delay_alu instid0(VALU_DEP_1) | instskip(SKIP_2) | instid1(VALU_DEP_3)
	v_and_b32_e32 v34, 7, v33
	v_lshrrev_b32_e32 v26, 2, v33
	v_cndmask_b32_e64 v33, 0, 1, s5
	v_cmp_lt_i32_e64 s3, 5, v34
	v_cmp_eq_u32_e64 s4, 3, v34
	s_delay_alu instid0(VALU_DEP_3) | instskip(NEXT) | instid1(VALU_DEP_2)
	v_lshl_or_b32 v33, v33, 9, 0x7c00
	s_or_b32 s0, s4, s3
	v_cmp_ne_u32_e64 s4, 0, v5
	v_add_co_ci_u32_e64 v26, s0, 0, v26, s0
	v_cmp_gt_i32_e64 s0, 31, v30
	v_lshrrev_b32_e32 v5, 2, v11
	s_delay_alu instid0(VALU_DEP_2) | instskip(SKIP_3) | instid1(VALU_DEP_3)
	v_cndmask_b32_e64 v26, 0x7c00, v26, s0
	v_cmp_eq_u32_e64 s0, 0x40f, v30
	v_and_b32_e32 v30, 7, v11
	v_cndmask_b32_e64 v11, 0, 1, s4
	v_cndmask_b32_e64 v26, v26, v33, s0
	s_delay_alu instid0(VALU_DEP_3) | instskip(SKIP_1) | instid1(VALU_DEP_4)
	v_cmp_lt_i32_e64 s0, 5, v30
	v_cmp_eq_u32_e64 s3, 3, v30
	v_lshl_or_b32 v11, v11, 9, 0x7c00
	s_delay_alu instid0(VALU_DEP_4) | instskip(NEXT) | instid1(VALU_DEP_3)
	v_and_or_b32 v12, 0x8000, v12, v26
	s_or_b32 s0, s3, s0
	s_delay_alu instid0(SALU_CYCLE_1) | instskip(SKIP_1) | instid1(VALU_DEP_1)
	v_add_co_ci_u32_e64 v5, s0, 0, v5, s0
	v_cmp_gt_i32_e64 s0, 31, v13
	v_cndmask_b32_e64 v5, 0x7c00, v5, s0
	v_cmp_eq_u32_e64 s0, 0x40f, v13
	s_delay_alu instid0(VALU_DEP_1) | instskip(SKIP_1) | instid1(VALU_DEP_1)
	v_cndmask_b32_e64 v5, v5, v11, s0
	v_lshrrev_b32_e32 v11, 16, v23
	v_and_or_b32 v5, 0x8000, v11, v5
	v_and_b32_e32 v11, 0xffff, v12
	s_delay_alu instid0(VALU_DEP_1) | instskip(SKIP_3) | instid1(VALU_DEP_1)
	v_lshl_or_b32 v5, v5, 16, v11
	global_store_b32 v[7:8], v5, off
	v_mul_f16_e32 v5, v37, v19
	v_add_co_u32 v7, s0, v7, s14
	v_add_co_ci_u32_e64 v8, s0, s15, v8, s0
	s_delay_alu instid0(VALU_DEP_3) | instskip(SKIP_4) | instid1(VALU_DEP_1)
	v_fmac_f16_e32 v5, v36, v15
	s_clause 0x1
	scratch_load_b32 v36, off, off offset:116
	scratch_load_b32 v37, off, off offset:72
	v_cvt_f32_f16_e32 v5, v5
	v_cvt_f64_f32_e32 v[11:12], v5
	s_delay_alu instid0(VALU_DEP_1) | instskip(NEXT) | instid1(VALU_DEP_1)
	v_mul_f64 v[11:12], v[11:12], s[10:11]
	v_and_or_b32 v5, 0x1ff, v12, v11
	v_lshrrev_b32_e32 v11, 8, v12
	s_delay_alu instid0(VALU_DEP_2) | instskip(NEXT) | instid1(VALU_DEP_1)
	v_cmp_ne_u32_e64 s0, 0, v5
	v_cndmask_b32_e64 v5, 0, 1, s0
	s_delay_alu instid0(VALU_DEP_1) | instskip(SKIP_2) | instid1(VALU_DEP_3)
	v_and_or_b32 v5, 0xffe, v11, v5
	v_bfe_u32 v11, v12, 20, 11
	v_lshrrev_b32_e32 v12, 16, v12
	v_or_b32_e32 v15, 0x1000, v5
	s_delay_alu instid0(VALU_DEP_3) | instskip(SKIP_2) | instid1(VALU_DEP_3)
	v_sub_nc_u32_e32 v13, 0x3f1, v11
	v_add_nc_u32_e32 v11, 0xfffffc10, v11
	v_cmp_ne_u32_e64 s4, 0, v5
	v_med3_i32 v13, v13, 0, 13
	s_delay_alu instid0(VALU_DEP_1) | instskip(NEXT) | instid1(VALU_DEP_1)
	v_lshrrev_b32_e32 v19, v13, v15
	v_lshlrev_b32_e32 v13, v13, v19
	s_delay_alu instid0(VALU_DEP_1) | instskip(SKIP_2) | instid1(VALU_DEP_3)
	v_cmp_ne_u32_e64 s0, v13, v15
	v_lshl_or_b32 v15, v11, 12, v5
	v_cndmask_b32_e64 v5, 0, 1, s2
	v_cndmask_b32_e64 v13, 0, 1, s0
	v_cmp_gt_i32_e64 s0, 1, v11
	s_delay_alu instid0(VALU_DEP_3) | instskip(NEXT) | instid1(VALU_DEP_3)
	v_or_b32_e32 v5, v28, v5
	v_or_b32_e32 v13, v19, v13
	s_delay_alu instid0(VALU_DEP_1) | instskip(NEXT) | instid1(VALU_DEP_1)
	v_cndmask_b32_e64 v13, v15, v13, s0
	v_and_b32_e32 v15, 7, v13
	v_lshrrev_b32_e32 v13, 2, v13
	s_delay_alu instid0(VALU_DEP_2) | instskip(SKIP_2) | instid1(VALU_DEP_2)
	v_cmp_lt_i32_e64 s0, 5, v15
	v_cmp_eq_u32_e64 s3, 3, v15
	v_add_nc_u32_e32 v15, 0xfffffc10, v27
	s_or_b32 s0, s3, s0
	s_delay_alu instid0(VALU_DEP_1) | instskip(SKIP_4) | instid1(VALU_DEP_4)
	v_lshl_or_b32 v19, v15, 12, v9
	v_cmp_gt_i32_e64 s2, 1, v15
	v_add_co_ci_u32_e64 v13, s0, 0, v13, s0
	v_cmp_gt_i32_e64 s0, 31, v11
	v_cmp_ne_u32_e64 s3, 0, v9
	v_cndmask_b32_e64 v5, v19, v5, s2
	v_cndmask_b32_e64 v19, 0, 1, s4
	s_delay_alu instid0(VALU_DEP_4) | instskip(SKIP_2) | instid1(VALU_DEP_4)
	v_cndmask_b32_e64 v13, 0x7c00, v13, s0
	v_cmp_eq_u32_e64 s0, 0x40f, v11
	v_cndmask_b32_e64 v9, 0, 1, s3
	v_lshl_or_b32 v19, v19, 9, 0x7c00
	s_delay_alu instid0(VALU_DEP_2) | instskip(NEXT) | instid1(VALU_DEP_2)
	v_lshl_or_b32 v9, v9, 9, 0x7c00
	v_cndmask_b32_e64 v11, v13, v19, s0
	v_and_b32_e32 v13, 7, v5
	v_lshrrev_b32_e32 v5, 2, v5
	s_delay_alu instid0(VALU_DEP_2) | instskip(SKIP_1) | instid1(VALU_DEP_1)
	v_cmp_lt_i32_e64 s0, 5, v13
	v_cmp_eq_u32_e64 s2, 3, v13
	s_or_b32 s0, s2, s0
	s_delay_alu instid0(VALU_DEP_3) | instid1(SALU_CYCLE_1)
	v_add_co_ci_u32_e64 v5, s0, 0, v5, s0
	v_cmp_gt_i32_e64 s0, 31, v15
	s_delay_alu instid0(VALU_DEP_1) | instskip(SKIP_1) | instid1(VALU_DEP_1)
	v_cndmask_b32_e64 v5, 0x7c00, v5, s0
	v_cmp_eq_u32_e64 s0, 0x40f, v15
	v_cndmask_b32_e64 v5, v5, v9, s0
	v_lshrrev_b32_e32 v9, 16, v10
	v_and_or_b32 v10, 0x8000, v12, v11
	s_delay_alu instid0(VALU_DEP_2) | instskip(NEXT) | instid1(VALU_DEP_2)
	v_and_or_b32 v5, 0x8000, v9, v5
	v_and_b32_e32 v9, 0xffff, v10
	ds_load_2addr_b32 v[10:11], v75 offset0:116 offset1:176
	v_lshl_or_b32 v5, v5, 16, v9
	global_store_b32 v[7:8], v5, off
	v_add_co_u32 v7, s0, v7, s14
	s_delay_alu instid0(VALU_DEP_1) | instskip(SKIP_4) | instid1(VALU_DEP_1)
	v_add_co_ci_u32_e64 v8, s0, s15, v8, s0
	s_waitcnt lgkmcnt(0)
	v_lshrrev_b32_e32 v5, 16, v10
	s_waitcnt vmcnt(1)
	v_mul_f16_e32 v9, v36, v10
	v_fma_f16 v9, v35, v5, -v9
	v_mul_f16_e32 v5, v36, v5
	s_delay_alu instid0(VALU_DEP_2) | instskip(NEXT) | instid1(VALU_DEP_2)
	v_cvt_f32_f16_e32 v9, v9
	v_fmac_f16_e32 v5, v35, v10
	s_delay_alu instid0(VALU_DEP_2) | instskip(NEXT) | instid1(VALU_DEP_2)
	v_cvt_f64_f32_e32 v[12:13], v9
	v_cvt_f32_f16_e32 v5, v5
	s_delay_alu instid0(VALU_DEP_2) | instskip(NEXT) | instid1(VALU_DEP_1)
	v_mul_f64 v[12:13], v[12:13], s[10:11]
	v_and_or_b32 v9, 0x1ff, v13, v12
	v_lshrrev_b32_e32 v12, 8, v13
	v_bfe_u32 v19, v13, 20, 11
	s_delay_alu instid0(VALU_DEP_3) | instskip(NEXT) | instid1(VALU_DEP_1)
	v_cmp_ne_u32_e64 s0, 0, v9
	v_cndmask_b32_e64 v9, 0, 1, s0
	s_delay_alu instid0(VALU_DEP_1) | instskip(NEXT) | instid1(VALU_DEP_4)
	v_and_or_b32 v12, 0xffe, v12, v9
	v_sub_nc_u32_e32 v9, 0x3f1, v19
	s_delay_alu instid0(VALU_DEP_2) | instskip(NEXT) | instid1(VALU_DEP_2)
	v_or_b32_e32 v15, 0x1000, v12
	v_med3_i32 v9, v9, 0, 13
	s_delay_alu instid0(VALU_DEP_1) | instskip(NEXT) | instid1(VALU_DEP_1)
	v_lshrrev_b32_e32 v28, v9, v15
	v_lshlrev_b32_e32 v9, v9, v28
	s_delay_alu instid0(VALU_DEP_1) | instskip(SKIP_1) | instid1(VALU_DEP_1)
	v_cmp_ne_u32_e64 s0, v9, v15
	v_cvt_f32_f16_e32 v9, v22
	v_cvt_f64_f32_e32 v[22:23], v9
	s_delay_alu instid0(VALU_DEP_1) | instskip(NEXT) | instid1(VALU_DEP_1)
	v_mul_f64 v[22:23], v[22:23], s[10:11]
	v_and_or_b32 v9, 0x1ff, v23, v22
	v_lshrrev_b32_e32 v15, 8, v23
	s_delay_alu instid0(VALU_DEP_2) | instskip(NEXT) | instid1(VALU_DEP_1)
	v_cmp_ne_u32_e64 s2, 0, v9
	v_cndmask_b32_e64 v9, 0, 1, s2
	s_delay_alu instid0(VALU_DEP_1) | instskip(SKIP_1) | instid1(VALU_DEP_2)
	v_and_or_b32 v9, 0xffe, v15, v9
	v_bfe_u32 v15, v23, 20, 11
	v_or_b32_e32 v26, 0x1000, v9
	s_delay_alu instid0(VALU_DEP_2) | instskip(SKIP_2) | instid1(VALU_DEP_3)
	v_sub_nc_u32_e32 v22, 0x3f1, v15
	v_add_nc_u32_e32 v15, 0xfffffc10, v15
	v_cmp_ne_u32_e64 s3, 0, v9
	v_med3_i32 v22, v22, 0, 13
	s_delay_alu instid0(VALU_DEP_1) | instskip(NEXT) | instid1(VALU_DEP_1)
	v_lshrrev_b32_e32 v27, v22, v26
	v_lshlrev_b32_e32 v22, v22, v27
	s_delay_alu instid0(VALU_DEP_1) | instskip(SKIP_1) | instid1(VALU_DEP_2)
	v_cmp_ne_u32_e64 s2, v22, v26
	v_lshl_or_b32 v26, v15, 12, v9
	v_cndmask_b32_e64 v22, 0, 1, s2
	v_cmp_gt_i32_e64 s2, 1, v15
	s_delay_alu instid0(VALU_DEP_2) | instskip(SKIP_1) | instid1(VALU_DEP_2)
	v_or_b32_e32 v22, v27, v22
	v_lshl_or_b32 v27, v24, 12, v2
	v_cndmask_b32_e64 v22, v26, v22, s2
	v_cndmask_b32_e64 v26, 0, 1, s1
	v_cmp_gt_i32_e64 s1, 1, v24
	s_delay_alu instid0(VALU_DEP_3) | instskip(NEXT) | instid1(VALU_DEP_3)
	v_lshrrev_b32_e32 v2, 2, v22
	v_or_b32_e32 v26, v31, v26
	s_delay_alu instid0(VALU_DEP_1) | instskip(SKIP_2) | instid1(VALU_DEP_3)
	v_cndmask_b32_e64 v26, v27, v26, s1
	v_and_b32_e32 v27, 7, v22
	v_cndmask_b32_e64 v22, 0, 1, s6
	v_and_b32_e32 v9, 7, v26
	s_delay_alu instid0(VALU_DEP_3) | instskip(SKIP_1) | instid1(VALU_DEP_4)
	v_cmp_lt_i32_e64 s1, 5, v27
	v_cmp_eq_u32_e64 s2, 3, v27
	v_lshl_or_b32 v22, v22, 9, 0x7c00
	s_delay_alu instid0(VALU_DEP_4) | instskip(SKIP_1) | instid1(VALU_DEP_4)
	v_cmp_lt_i32_e64 s4, 5, v9
	v_cmp_eq_u32_e64 s5, 3, v9
	s_or_b32 s1, s2, s1
	v_cndmask_b32_e64 v9, 0, 1, s3
	v_add_co_ci_u32_e64 v2, s1, 0, v2, s1
	v_cmp_gt_i32_e64 s1, 31, v15
	s_delay_alu instid0(VALU_DEP_3) | instskip(NEXT) | instid1(VALU_DEP_2)
	v_lshl_or_b32 v9, v9, 9, 0x7c00
	v_cndmask_b32_e64 v2, 0x7c00, v2, s1
	v_cmp_eq_u32_e64 s1, 0x40f, v15
	v_lshrrev_b32_e32 v15, 2, v26
	s_delay_alu instid0(VALU_DEP_2) | instskip(SKIP_2) | instid1(VALU_DEP_3)
	v_cndmask_b32_e64 v2, v2, v9, s1
	s_or_b32 s1, s5, s4
	v_lshrrev_b32_e32 v9, 16, v23
	v_add_co_ci_u32_e64 v15, s1, 0, v15, s1
	v_cmp_gt_i32_e64 s1, 31, v24
	s_delay_alu instid0(VALU_DEP_3) | instskip(NEXT) | instid1(VALU_DEP_2)
	v_and_or_b32 v2, 0x8000, v9, v2
	v_cndmask_b32_e64 v15, 0x7c00, v15, s1
	v_cmp_eq_u32_e64 s1, 0x40f, v24
	s_delay_alu instid0(VALU_DEP_3) | instskip(NEXT) | instid1(VALU_DEP_2)
	v_and_b32_e32 v2, 0xffff, v2
	v_cndmask_b32_e64 v15, v15, v22, s1
	v_lshrrev_b32_e32 v22, 16, v25
	s_delay_alu instid0(VALU_DEP_1) | instskip(SKIP_1) | instid1(VALU_DEP_1)
	v_and_or_b32 v9, 0x8000, v22, v15
	v_add_co_u32 v22, s1, v7, s14
	v_add_co_ci_u32_e64 v23, s1, s15, v8, s1
	s_delay_alu instid0(VALU_DEP_3) | instskip(SKIP_3) | instid1(VALU_DEP_1)
	v_lshl_or_b32 v2, v9, 16, v2
	scratch_load_b32 v15, off, off offset:100 ; 4-byte Folded Reload
	global_store_b32 v[7:8], v2, off
	v_cvt_f32_f16_e32 v2, v32
	v_cvt_f64_f32_e32 v[7:8], v2
	s_delay_alu instid0(VALU_DEP_1) | instskip(NEXT) | instid1(VALU_DEP_1)
	v_mul_f64 v[24:25], v[7:8], s[10:11]
	v_and_or_b32 v2, 0x1ff, v25, v24
	v_lshrrev_b32_e32 v7, 8, v25
	s_delay_alu instid0(VALU_DEP_2) | instskip(NEXT) | instid1(VALU_DEP_1)
	v_cmp_ne_u32_e64 s1, 0, v2
	v_cndmask_b32_e64 v2, 0, 1, s1
	s_delay_alu instid0(VALU_DEP_1) | instskip(SKIP_1) | instid1(VALU_DEP_2)
	v_and_or_b32 v2, 0xffe, v7, v2
	v_bfe_u32 v7, v25, 20, 11
	v_or_b32_e32 v9, 0x1000, v2
	s_delay_alu instid0(VALU_DEP_2) | instskip(SKIP_1) | instid1(VALU_DEP_2)
	v_sub_nc_u32_e32 v8, 0x3f1, v7
	v_add_nc_u32_e32 v7, 0xfffffc10, v7
	v_med3_i32 v8, v8, 0, 13
	s_delay_alu instid0(VALU_DEP_1) | instskip(NEXT) | instid1(VALU_DEP_1)
	v_lshrrev_b32_e32 v24, v8, v9
	v_lshlrev_b32_e32 v8, v8, v24
	s_delay_alu instid0(VALU_DEP_1) | instskip(SKIP_3) | instid1(VALU_DEP_1)
	v_cmp_ne_u32_e64 s2, v8, v9
	scratch_load_b32 v9, off, off offset:124 ; 4-byte Folded Reload
	v_lshrrev_b32_e32 v8, 16, v14
	s_waitcnt vmcnt(0)
	v_mul_f16_e32 v30, v9, v8
	v_mul_f16_e32 v9, v9, v14
	s_delay_alu instid0(VALU_DEP_2) | instskip(NEXT) | instid1(VALU_DEP_2)
	v_fmac_f16_e32 v30, v15, v14
	v_fma_f16 v31, v15, v8, -v9
	ds_load_2addr_b32 v[8:9], v76 offset0:36 offset1:96
	s_waitcnt lgkmcnt(0)
	v_lshrrev_b32_e32 v32, 16, v8
	v_mul_f16_e32 v14, v38, v8
	s_delay_alu instid0(VALU_DEP_1) | instskip(NEXT) | instid1(VALU_DEP_1)
	v_fma_f16 v14, v37, v32, -v14
	v_cvt_f32_f16_e32 v14, v14
	s_delay_alu instid0(VALU_DEP_1) | instskip(NEXT) | instid1(VALU_DEP_1)
	v_cvt_f64_f32_e32 v[14:15], v14
	v_mul_f64 v[14:15], v[14:15], s[10:11]
	s_delay_alu instid0(VALU_DEP_1) | instskip(SKIP_2) | instid1(VALU_DEP_3)
	v_and_or_b32 v14, 0x1ff, v15, v14
	v_lshrrev_b32_e32 v26, 8, v15
	v_bfe_u32 v33, v15, 20, 11
	v_cmp_ne_u32_e64 s1, 0, v14
	s_delay_alu instid0(VALU_DEP_1) | instskip(NEXT) | instid1(VALU_DEP_1)
	v_cndmask_b32_e64 v14, 0, 1, s1
	v_and_or_b32 v14, 0xffe, v26, v14
	s_delay_alu instid0(VALU_DEP_4) | instskip(NEXT) | instid1(VALU_DEP_2)
	v_sub_nc_u32_e32 v26, 0x3f1, v33
	v_or_b32_e32 v27, 0x1000, v14
	s_delay_alu instid0(VALU_DEP_2) | instskip(NEXT) | instid1(VALU_DEP_1)
	v_med3_i32 v26, v26, 0, 13
	v_lshrrev_b32_e32 v34, v26, v27
	s_delay_alu instid0(VALU_DEP_1) | instskip(NEXT) | instid1(VALU_DEP_1)
	v_lshlrev_b32_e32 v26, v26, v34
	v_cmp_ne_u32_e64 s1, v26, v27
	v_cvt_f64_f32_e32 v[26:27], v5
	s_delay_alu instid0(VALU_DEP_1) | instskip(NEXT) | instid1(VALU_DEP_1)
	v_mul_f64 v[26:27], v[26:27], s[10:11]
	v_and_or_b32 v5, 0x1ff, v27, v26
	v_lshrrev_b32_e32 v10, 8, v27
	s_delay_alu instid0(VALU_DEP_2) | instskip(NEXT) | instid1(VALU_DEP_1)
	v_cmp_ne_u32_e64 s3, 0, v5
	v_cndmask_b32_e64 v5, 0, 1, s3
	s_delay_alu instid0(VALU_DEP_1) | instskip(SKIP_1) | instid1(VALU_DEP_2)
	v_and_or_b32 v5, 0xffe, v10, v5
	v_bfe_u32 v10, v27, 20, 11
	v_or_b32_e32 v35, 0x1000, v5
	s_delay_alu instid0(VALU_DEP_2) | instskip(SKIP_1) | instid1(VALU_DEP_2)
	v_sub_nc_u32_e32 v26, 0x3f1, v10
	v_add_nc_u32_e32 v10, 0xfffffc10, v10
	v_med3_i32 v26, v26, 0, 13
	s_delay_alu instid0(VALU_DEP_1) | instskip(NEXT) | instid1(VALU_DEP_1)
	v_lshrrev_b32_e32 v36, v26, v35
	v_lshlrev_b32_e32 v26, v26, v36
	s_delay_alu instid0(VALU_DEP_1) | instskip(SKIP_1) | instid1(VALU_DEP_2)
	v_cmp_ne_u32_e64 s3, v26, v35
	v_lshl_or_b32 v35, v10, 12, v5
	v_cndmask_b32_e64 v26, 0, 1, s3
	v_cmp_gt_i32_e64 s3, 1, v10
	s_delay_alu instid0(VALU_DEP_2) | instskip(SKIP_2) | instid1(VALU_DEP_1)
	v_or_b32_e32 v26, v36, v26
	scratch_load_b32 v36, off, off offset:84 ; 4-byte Folded Reload
	v_cndmask_b32_e64 v26, v35, v26, s3
	v_and_b32_e32 v35, 7, v26
	v_lshrrev_b32_e32 v26, 2, v26
	s_delay_alu instid0(VALU_DEP_2) | instskip(SKIP_4) | instid1(VALU_DEP_4)
	v_cmp_lt_i32_e64 s3, 5, v35
	v_cmp_eq_u32_e64 s4, 3, v35
	v_cndmask_b32_e64 v35, 0, 1, s0
	v_cmp_ne_u32_e64 s0, 0, v5
	v_add_nc_u32_e32 v5, 0xfffffc10, v19
	s_or_b32 s3, s4, s3
	s_delay_alu instid0(VALU_DEP_3) | instskip(SKIP_1) | instid1(VALU_DEP_3)
	v_or_b32_e32 v28, v28, v35
	v_add_co_ci_u32_e64 v26, s3, 0, v26, s3
	v_lshl_or_b32 v19, v5, 12, v12
	v_cmp_gt_i32_e64 s5, 1, v5
	v_cmp_gt_i32_e64 s3, 31, v10
	v_cmp_ne_u32_e64 s4, 0, v12
	scratch_load_b32 v35, off, off offset:68 ; 4-byte Folded Reload
	v_cndmask_b32_e64 v19, v19, v28, s5
	v_cndmask_b32_e64 v28, 0, 1, s0
	;; [unrolled: 1-line block ×3, first 2 shown]
	v_cmp_eq_u32_e64 s0, 0x40f, v10
	v_cmp_gt_i32_e64 s5, 1, v7
	v_lshrrev_b32_e32 v12, 2, v19
	v_lshl_or_b32 v28, v28, 9, 0x7c00
	s_delay_alu instid0(VALU_DEP_1) | instskip(SKIP_3) | instid1(VALU_DEP_3)
	v_cndmask_b32_e64 v10, v26, v28, s0
	v_lshrrev_b32_e32 v26, 16, v27
	v_and_b32_e32 v27, 7, v19
	v_cndmask_b32_e64 v19, 0, 1, s4
	v_and_or_b32 v10, 0x8000, v26, v10
	s_delay_alu instid0(VALU_DEP_3) | instskip(SKIP_1) | instid1(VALU_DEP_4)
	v_cmp_lt_i32_e64 s0, 5, v27
	v_cmp_eq_u32_e64 s3, 3, v27
	v_lshl_or_b32 v19, v19, 9, 0x7c00
	s_delay_alu instid0(VALU_DEP_4) | instskip(NEXT) | instid1(VALU_DEP_3)
	v_and_b32_e32 v10, 0xffff, v10
	s_or_b32 s0, s3, s0
	s_delay_alu instid0(SALU_CYCLE_1) | instskip(SKIP_1) | instid1(VALU_DEP_1)
	v_add_co_ci_u32_e64 v12, s0, 0, v12, s0
	v_cmp_gt_i32_e64 s0, 31, v5
	v_cndmask_b32_e64 v12, 0x7c00, v12, s0
	v_cmp_eq_u32_e64 s0, 0x40f, v5
	s_delay_alu instid0(VALU_DEP_1) | instskip(SKIP_1) | instid1(VALU_DEP_1)
	v_cndmask_b32_e64 v5, v12, v19, s0
	v_lshrrev_b32_e32 v12, 16, v13
	v_and_or_b32 v5, 0x8000, v12, v5
	v_add_co_u32 v12, s0, v22, s14
	s_delay_alu instid0(VALU_DEP_1) | instskip(NEXT) | instid1(VALU_DEP_3)
	v_add_co_ci_u32_e64 v13, s0, s15, v23, s0
	v_lshl_or_b32 v5, v5, 16, v10
	global_store_b32 v[22:23], v5, off
	v_cvt_f32_f16_e32 v5, v31
	s_delay_alu instid0(VALU_DEP_1) | instskip(NEXT) | instid1(VALU_DEP_1)
	v_cvt_f64_f32_e32 v[22:23], v5
	v_mul_f64 v[22:23], v[22:23], s[10:11]
	s_delay_alu instid0(VALU_DEP_1) | instskip(SKIP_1) | instid1(VALU_DEP_2)
	v_and_or_b32 v5, 0x1ff, v23, v22
	v_lshrrev_b32_e32 v10, 8, v23
	v_cmp_ne_u32_e64 s0, 0, v5
	s_delay_alu instid0(VALU_DEP_1) | instskip(NEXT) | instid1(VALU_DEP_1)
	v_cndmask_b32_e64 v5, 0, 1, s0
	v_and_or_b32 v5, 0xffe, v10, v5
	v_bfe_u32 v10, v23, 20, 11
	s_delay_alu instid0(VALU_DEP_2) | instskip(NEXT) | instid1(VALU_DEP_2)
	v_or_b32_e32 v22, 0x1000, v5
	v_sub_nc_u32_e32 v19, 0x3f1, v10
	s_delay_alu instid0(VALU_DEP_1) | instskip(NEXT) | instid1(VALU_DEP_1)
	v_med3_i32 v19, v19, 0, 13
	v_lshrrev_b32_e32 v28, v19, v22
	s_delay_alu instid0(VALU_DEP_1) | instskip(NEXT) | instid1(VALU_DEP_1)
	v_lshlrev_b32_e32 v19, v19, v28
	v_cmp_ne_u32_e64 s0, v19, v22
	v_cvt_f32_f16_e32 v19, v29
	s_delay_alu instid0(VALU_DEP_1) | instskip(NEXT) | instid1(VALU_DEP_1)
	v_cvt_f64_f32_e32 v[26:27], v19
	v_mul_f64 v[26:27], v[26:27], s[10:11]
	s_delay_alu instid0(VALU_DEP_1) | instskip(SKIP_1) | instid1(VALU_DEP_2)
	v_and_or_b32 v19, 0x1ff, v27, v26
	v_lshrrev_b32_e32 v22, 8, v27
	v_cmp_ne_u32_e64 s3, 0, v19
	s_delay_alu instid0(VALU_DEP_1) | instskip(NEXT) | instid1(VALU_DEP_1)
	v_cndmask_b32_e64 v19, 0, 1, s3
	v_and_or_b32 v19, 0xffe, v22, v19
	v_bfe_u32 v22, v27, 20, 11
	s_delay_alu instid0(VALU_DEP_2) | instskip(NEXT) | instid1(VALU_DEP_2)
	v_or_b32_e32 v29, 0x1000, v19
	v_sub_nc_u32_e32 v26, 0x3f1, v22
	v_add_nc_u32_e32 v22, 0xfffffc10, v22
	s_delay_alu instid0(VALU_DEP_2) | instskip(NEXT) | instid1(VALU_DEP_1)
	v_med3_i32 v26, v26, 0, 13
	v_lshrrev_b32_e32 v31, v26, v29
	s_delay_alu instid0(VALU_DEP_1) | instskip(NEXT) | instid1(VALU_DEP_1)
	v_lshlrev_b32_e32 v26, v26, v31
	v_cmp_ne_u32_e64 s3, v26, v29
	v_lshl_or_b32 v29, v22, 12, v19
	s_delay_alu instid0(VALU_DEP_2) | instskip(SKIP_1) | instid1(VALU_DEP_2)
	v_cndmask_b32_e64 v26, 0, 1, s3
	v_cmp_gt_i32_e64 s3, 1, v22
	v_or_b32_e32 v26, v31, v26
	s_delay_alu instid0(VALU_DEP_1) | instskip(NEXT) | instid1(VALU_DEP_1)
	v_cndmask_b32_e64 v26, v29, v26, s3
	v_and_b32_e32 v29, 7, v26
	s_delay_alu instid0(VALU_DEP_1) | instskip(SKIP_4) | instid1(VALU_DEP_4)
	v_cmp_lt_i32_e64 s3, 5, v29
	v_cmp_eq_u32_e64 s4, 3, v29
	v_cndmask_b32_e64 v29, 0, 1, s2
	v_cmp_ne_u32_e64 s2, 0, v19
	v_lshl_or_b32 v19, v7, 12, v2
	s_or_b32 s3, s4, s3
	s_delay_alu instid0(VALU_DEP_3) | instskip(SKIP_1) | instid1(VALU_DEP_2)
	v_or_b32_e32 v24, v24, v29
	v_cmp_ne_u32_e64 s4, 0, v2
	v_cndmask_b32_e64 v19, v19, v24, s5
	v_lshrrev_b32_e32 v24, 2, v26
	v_cndmask_b32_e64 v26, 0, 1, s2
	v_cmp_eq_u32_e64 s2, 0x40f, v22
	s_delay_alu instid0(VALU_DEP_4) | instskip(NEXT) | instid1(VALU_DEP_4)
	v_lshrrev_b32_e32 v2, 2, v19
	v_add_co_ci_u32_e64 v24, s3, 0, v24, s3
	v_cmp_gt_i32_e64 s3, 31, v22
	v_lshl_or_b32 v26, v26, 9, 0x7c00
	s_delay_alu instid0(VALU_DEP_2) | instskip(NEXT) | instid1(VALU_DEP_1)
	v_cndmask_b32_e64 v24, 0x7c00, v24, s3
	v_cndmask_b32_e64 v22, v24, v26, s2
	v_and_b32_e32 v26, 7, v19
	v_cndmask_b32_e64 v19, 0, 1, s4
	v_lshrrev_b32_e32 v24, 16, v27
	s_delay_alu instid0(VALU_DEP_3) | instskip(SKIP_1) | instid1(VALU_DEP_4)
	v_cmp_lt_i32_e64 s2, 5, v26
	v_cmp_eq_u32_e64 s3, 3, v26
	v_lshl_or_b32 v19, v19, 9, 0x7c00
	s_delay_alu instid0(VALU_DEP_2) | instskip(NEXT) | instid1(SALU_CYCLE_1)
	s_or_b32 s2, s3, s2
	v_add_co_ci_u32_e64 v2, s2, 0, v2, s2
	v_cmp_gt_i32_e64 s2, 31, v7
	s_delay_alu instid0(VALU_DEP_1) | instskip(SKIP_2) | instid1(VALU_DEP_2)
	v_cndmask_b32_e64 v2, 0x7c00, v2, s2
	v_cmp_eq_u32_e64 s2, 0x40f, v7
	v_lshrrev_b32_e32 v7, 16, v25
	v_cndmask_b32_e64 v2, v2, v19, s2
	v_and_or_b32 v19, 0x8000, v24, v22
	s_delay_alu instid0(VALU_DEP_2) | instskip(NEXT) | instid1(VALU_DEP_2)
	v_and_or_b32 v2, 0x8000, v7, v2
	v_and_b32_e32 v7, 0xffff, v19
	scratch_load_b32 v19, off, off offset:76 ; 4-byte Folded Reload
	v_lshl_or_b32 v2, v2, 16, v7
	scratch_load_b32 v7, off, off offset:108 ; 4-byte Folded Reload
	global_store_b32 v[12:13], v2, off
	v_lshrrev_b32_e32 v2, 16, v0
	v_add_co_u32 v12, s2, v12, s14
	s_delay_alu instid0(VALU_DEP_1) | instskip(SKIP_1) | instid1(VALU_DEP_3)
	v_add_co_ci_u32_e64 v13, s2, s15, v13, s2
	s_waitcnt vmcnt(0)
	v_mul_f16_e32 v24, v7, v2
	v_mul_f16_e32 v7, v7, v0
	s_delay_alu instid0(VALU_DEP_2) | instskip(NEXT) | instid1(VALU_DEP_2)
	v_fmac_f16_e32 v24, v19, v0
	v_fma_f16 v0, v19, v2, -v7
	v_mul_f16_e32 v2, v38, v32
	s_delay_alu instid0(VALU_DEP_2) | instskip(NEXT) | instid1(VALU_DEP_2)
	v_cvt_f32_f16_e32 v0, v0
	v_fmac_f16_e32 v2, v37, v8
	s_delay_alu instid0(VALU_DEP_1) | instskip(NEXT) | instid1(VALU_DEP_1)
	v_cvt_f32_f16_e32 v2, v2
	v_cvt_f64_f32_e32 v[7:8], v2
	s_delay_alu instid0(VALU_DEP_1) | instskip(NEXT) | instid1(VALU_DEP_1)
	v_mul_f64 v[7:8], v[7:8], s[10:11]
	v_and_or_b32 v2, 0x1ff, v8, v7
	v_lshrrev_b32_e32 v7, 8, v8
	s_delay_alu instid0(VALU_DEP_2) | instskip(NEXT) | instid1(VALU_DEP_1)
	v_cmp_ne_u32_e64 s2, 0, v2
	v_cndmask_b32_e64 v2, 0, 1, s2
	s_delay_alu instid0(VALU_DEP_1) | instskip(SKIP_2) | instid1(VALU_DEP_3)
	v_and_or_b32 v2, 0xffe, v7, v2
	v_bfe_u32 v7, v8, 20, 11
	v_lshrrev_b32_e32 v8, 16, v8
	v_or_b32_e32 v22, 0x1000, v2
	s_delay_alu instid0(VALU_DEP_3) | instskip(SKIP_1) | instid1(VALU_DEP_2)
	v_sub_nc_u32_e32 v19, 0x3f1, v7
	v_add_nc_u32_e32 v7, 0xfffffc10, v7
	v_med3_i32 v19, v19, 0, 13
	s_delay_alu instid0(VALU_DEP_1) | instskip(NEXT) | instid1(VALU_DEP_1)
	v_lshrrev_b32_e32 v25, v19, v22
	v_lshlrev_b32_e32 v19, v19, v25
	s_delay_alu instid0(VALU_DEP_1) | instskip(SKIP_1) | instid1(VALU_DEP_2)
	v_cmp_ne_u32_e64 s2, v19, v22
	v_lshl_or_b32 v22, v7, 12, v2
	v_cndmask_b32_e64 v19, 0, 1, s2
	v_cmp_gt_i32_e64 s2, 1, v7
	s_delay_alu instid0(VALU_DEP_2) | instskip(NEXT) | instid1(VALU_DEP_1)
	v_or_b32_e32 v19, v25, v19
	v_cndmask_b32_e64 v19, v22, v19, s2
	s_delay_alu instid0(VALU_DEP_1) | instskip(SKIP_1) | instid1(VALU_DEP_2)
	v_and_b32_e32 v22, 7, v19
	v_lshrrev_b32_e32 v19, 2, v19
	v_cmp_lt_i32_e64 s2, 5, v22
	v_cmp_eq_u32_e64 s3, 3, v22
	v_cndmask_b32_e64 v22, 0, 1, s1
	v_cmp_ne_u32_e64 s1, 0, v2
	v_add_nc_u32_e32 v2, 0xfffffc10, v33
	s_delay_alu instid0(VALU_DEP_4) | instskip(NEXT) | instid1(VALU_DEP_3)
	s_or_b32 s2, s3, s2
	v_or_b32_e32 v22, v34, v22
	v_add_co_ci_u32_e64 v19, s2, 0, v19, s2
	s_delay_alu instid0(VALU_DEP_3) | instskip(SKIP_3) | instid1(VALU_DEP_3)
	v_lshl_or_b32 v25, v2, 12, v14
	v_cmp_gt_i32_e64 s4, 1, v2
	v_cmp_gt_i32_e64 s2, 31, v7
	v_cmp_ne_u32_e64 s3, 0, v14
	v_cndmask_b32_e64 v22, v25, v22, s4
	v_cndmask_b32_e64 v25, 0, 1, s1
	s_delay_alu instid0(VALU_DEP_4) | instskip(SKIP_1) | instid1(VALU_DEP_4)
	v_cndmask_b32_e64 v19, 0x7c00, v19, s2
	v_cmp_eq_u32_e64 s1, 0x40f, v7
	v_lshrrev_b32_e32 v14, 2, v22
	s_delay_alu instid0(VALU_DEP_4) | instskip(NEXT) | instid1(VALU_DEP_1)
	v_lshl_or_b32 v25, v25, 9, 0x7c00
	v_cndmask_b32_e64 v7, v19, v25, s1
	v_and_b32_e32 v19, 7, v22
	scratch_load_b32 v22, off, off offset:64 ; 4-byte Folded Reload
	v_and_or_b32 v7, 0x8000, v8, v7
	v_cmp_lt_i32_e64 s1, 5, v19
	v_cmp_eq_u32_e64 s2, 3, v19
	v_cndmask_b32_e64 v19, 0, 1, s3
	s_delay_alu instid0(VALU_DEP_4) | instskip(NEXT) | instid1(VALU_DEP_3)
	v_and_b32_e32 v7, 0xffff, v7
	s_or_b32 s1, s2, s1
	s_delay_alu instid0(VALU_DEP_2) | instskip(SKIP_2) | instid1(VALU_DEP_1)
	v_lshl_or_b32 v19, v19, 9, 0x7c00
	v_add_co_ci_u32_e64 v14, s1, 0, v14, s1
	v_cmp_gt_i32_e64 s1, 31, v2
	v_cndmask_b32_e64 v14, 0x7c00, v14, s1
	v_cmp_eq_u32_e64 s1, 0x40f, v2
	s_delay_alu instid0(VALU_DEP_1) | instskip(SKIP_1) | instid1(VALU_DEP_1)
	v_cndmask_b32_e64 v2, v14, v19, s1
	v_lshrrev_b32_e32 v14, 16, v15
	v_and_or_b32 v2, 0x8000, v14, v2
	s_delay_alu instid0(VALU_DEP_1) | instskip(SKIP_3) | instid1(VALU_DEP_1)
	v_lshl_or_b32 v2, v2, 16, v7
	ds_load_2addr_b32 v[7:8], v21 offset0:84 offset1:144
	global_store_b32 v[12:13], v2, off
	v_add_co_u32 v12, s1, v12, s14
	v_add_co_ci_u32_e64 v13, s1, s15, v13, s1
	s_waitcnt lgkmcnt(0)
	v_lshrrev_b32_e32 v2, 16, v7
	v_mul_f16_e32 v14, v36, v7
	s_delay_alu instid0(VALU_DEP_1) | instskip(SKIP_1) | instid1(VALU_DEP_2)
	v_fma_f16 v14, v35, v2, -v14
	v_mul_f16_e32 v2, v36, v2
	v_cvt_f32_f16_e32 v14, v14
	s_delay_alu instid0(VALU_DEP_2) | instskip(NEXT) | instid1(VALU_DEP_2)
	v_fmac_f16_e32 v2, v35, v7
	v_cvt_f64_f32_e32 v[14:15], v14
	s_delay_alu instid0(VALU_DEP_2) | instskip(NEXT) | instid1(VALU_DEP_2)
	v_cvt_f32_f16_e32 v2, v2
	v_mul_f64 v[14:15], v[14:15], s[10:11]
	s_delay_alu instid0(VALU_DEP_1) | instskip(SKIP_3) | instid1(VALU_DEP_4)
	v_and_or_b32 v14, 0x1ff, v15, v14
	v_lshrrev_b32_e32 v19, 8, v15
	v_bfe_u32 v25, v15, 20, 11
	v_lshrrev_b32_e32 v15, 16, v15
	v_cmp_ne_u32_e64 s1, 0, v14
	s_delay_alu instid0(VALU_DEP_1) | instskip(NEXT) | instid1(VALU_DEP_1)
	v_cndmask_b32_e64 v14, 0, 1, s1
	v_and_or_b32 v14, 0xffe, v19, v14
	v_sub_nc_u32_e32 v19, 0x3f1, v25
	v_add_nc_u32_e32 v25, 0xfffffc10, v25
	s_delay_alu instid0(VALU_DEP_3) | instskip(NEXT) | instid1(VALU_DEP_3)
	v_or_b32_e32 v21, 0x1000, v14
	v_med3_i32 v19, v19, 0, 13
	s_delay_alu instid0(VALU_DEP_1) | instskip(NEXT) | instid1(VALU_DEP_1)
	v_lshrrev_b32_e32 v26, v19, v21
	v_lshlrev_b32_e32 v19, v19, v26
	s_delay_alu instid0(VALU_DEP_1) | instskip(SKIP_3) | instid1(VALU_DEP_1)
	v_cmp_ne_u32_e64 s2, v19, v21
	scratch_load_b32 v21, off, off offset:92 ; 4-byte Folded Reload
	v_lshrrev_b32_e32 v19, 16, v20
	s_waitcnt vmcnt(0)
	v_mul_f16_e32 v27, v21, v19
	v_mul_f16_e32 v21, v21, v20
	s_delay_alu instid0(VALU_DEP_2) | instskip(NEXT) | instid1(VALU_DEP_2)
	v_fmac_f16_e32 v27, v22, v20
	v_fma_f16 v29, v22, v19, -v21
	v_cvt_f64_f32_e32 v[19:20], v0
	s_delay_alu instid0(VALU_DEP_1) | instskip(NEXT) | instid1(VALU_DEP_1)
	v_mul_f64 v[19:20], v[19:20], s[10:11]
	v_and_or_b32 v0, 0x1ff, v20, v19
	v_lshrrev_b32_e32 v19, 8, v20
	v_bfe_u32 v31, v20, 20, 11
	s_delay_alu instid0(VALU_DEP_3) | instskip(NEXT) | instid1(VALU_DEP_1)
	v_cmp_ne_u32_e64 s1, 0, v0
	v_cndmask_b32_e64 v0, 0, 1, s1
	s_delay_alu instid0(VALU_DEP_1) | instskip(NEXT) | instid1(VALU_DEP_4)
	v_and_or_b32 v19, 0xffe, v19, v0
	v_sub_nc_u32_e32 v0, 0x3f1, v31
	s_delay_alu instid0(VALU_DEP_2) | instskip(NEXT) | instid1(VALU_DEP_2)
	v_or_b32_e32 v21, 0x1000, v19
	v_med3_i32 v0, v0, 0, 13
	s_delay_alu instid0(VALU_DEP_1) | instskip(NEXT) | instid1(VALU_DEP_1)
	v_lshrrev_b32_e32 v32, v0, v21
	v_lshlrev_b32_e32 v0, v0, v32
	s_delay_alu instid0(VALU_DEP_1) | instskip(SKIP_1) | instid1(VALU_DEP_1)
	v_cmp_ne_u32_e64 s1, v0, v21
	v_cvt_f32_f16_e32 v0, v30
	v_cvt_f64_f32_e32 v[21:22], v0
	s_delay_alu instid0(VALU_DEP_1) | instskip(NEXT) | instid1(VALU_DEP_1)
	v_mul_f64 v[21:22], v[21:22], s[10:11]
	v_and_or_b32 v0, 0x1ff, v22, v21
	v_lshrrev_b32_e32 v21, 8, v22
	s_delay_alu instid0(VALU_DEP_2) | instskip(NEXT) | instid1(VALU_DEP_1)
	v_cmp_ne_u32_e64 s3, 0, v0
	v_cndmask_b32_e64 v0, 0, 1, s3
	s_delay_alu instid0(VALU_DEP_1) | instskip(SKIP_2) | instid1(VALU_DEP_3)
	v_and_or_b32 v0, 0xffe, v21, v0
	v_bfe_u32 v21, v22, 20, 11
	v_lshrrev_b32_e32 v22, 16, v22
	v_or_b32_e32 v33, 0x1000, v0
	s_delay_alu instid0(VALU_DEP_3) | instskip(SKIP_1) | instid1(VALU_DEP_2)
	v_sub_nc_u32_e32 v30, 0x3f1, v21
	v_add_nc_u32_e32 v21, 0xfffffc10, v21
	v_med3_i32 v30, v30, 0, 13
	s_delay_alu instid0(VALU_DEP_1) | instskip(NEXT) | instid1(VALU_DEP_1)
	v_lshrrev_b32_e32 v34, v30, v33
	v_lshlrev_b32_e32 v30, v30, v34
	s_delay_alu instid0(VALU_DEP_1) | instskip(SKIP_1) | instid1(VALU_DEP_2)
	v_cmp_ne_u32_e64 s3, v30, v33
	v_lshl_or_b32 v33, v21, 12, v0
	v_cndmask_b32_e64 v30, 0, 1, s3
	v_cmp_gt_i32_e64 s3, 1, v21
	s_delay_alu instid0(VALU_DEP_2) | instskip(SKIP_2) | instid1(VALU_DEP_1)
	v_or_b32_e32 v30, v34, v30
	scratch_load_b32 v34, off, off offset:32 ; 4-byte Folded Reload
	v_cndmask_b32_e64 v30, v33, v30, s3
	v_and_b32_e32 v33, 7, v30
	s_delay_alu instid0(VALU_DEP_1) | instskip(SKIP_4) | instid1(VALU_DEP_4)
	v_cmp_lt_i32_e64 s3, 5, v33
	v_cmp_eq_u32_e64 s4, 3, v33
	v_cndmask_b32_e64 v33, 0, 1, s0
	v_cmp_ne_u32_e64 s0, 0, v0
	v_add_nc_u32_e32 v0, 0xfffffc10, v10
	s_or_b32 s3, s4, s3
	s_delay_alu instid0(VALU_DEP_3) | instskip(SKIP_1) | instid1(VALU_DEP_3)
	v_or_b32_e32 v28, v28, v33
	v_cmp_ne_u32_e64 s4, 0, v5
	v_lshl_or_b32 v10, v0, 12, v5
	v_cmp_gt_i32_e64 s5, 1, v0
	s_delay_alu instid0(VALU_DEP_1) | instskip(SKIP_3) | instid1(VALU_DEP_4)
	v_cndmask_b32_e64 v10, v10, v28, s5
	v_lshrrev_b32_e32 v28, 2, v30
	v_cndmask_b32_e64 v30, 0, 1, s0
	v_cmp_eq_u32_e64 s0, 0x40f, v21
	v_lshrrev_b32_e32 v5, 2, v10
	s_delay_alu instid0(VALU_DEP_4) | instskip(SKIP_2) | instid1(VALU_DEP_2)
	v_add_co_ci_u32_e64 v28, s3, 0, v28, s3
	v_cmp_gt_i32_e64 s3, 31, v21
	v_lshl_or_b32 v30, v30, 9, 0x7c00
	v_cndmask_b32_e64 v28, 0x7c00, v28, s3
	s_delay_alu instid0(VALU_DEP_1)
	v_cndmask_b32_e64 v21, v28, v30, s0
	v_and_b32_e32 v28, 7, v10
	v_cndmask_b32_e64 v10, 0, 1, s4
	scratch_load_b32 v30, off, off offset:52 ; 4-byte Folded Reload
	v_cmp_lt_i32_e64 s0, 5, v28
	v_cmp_eq_u32_e64 s3, 3, v28
	v_lshl_or_b32 v10, v10, 9, 0x7c00
	s_delay_alu instid0(VALU_DEP_2) | instskip(NEXT) | instid1(SALU_CYCLE_1)
	s_or_b32 s0, s3, s0
	v_add_co_ci_u32_e64 v5, s0, 0, v5, s0
	v_cmp_gt_i32_e64 s0, 31, v0
	s_delay_alu instid0(VALU_DEP_1) | instskip(SKIP_1) | instid1(VALU_DEP_1)
	v_cndmask_b32_e64 v5, 0x7c00, v5, s0
	v_cmp_eq_u32_e64 s0, 0x40f, v0
	v_cndmask_b32_e64 v0, v5, v10, s0
	v_lshrrev_b32_e32 v5, 16, v23
	v_and_or_b32 v10, 0x8000, v22, v21
	s_delay_alu instid0(VALU_DEP_2) | instskip(NEXT) | instid1(VALU_DEP_2)
	v_and_or_b32 v0, 0x8000, v5, v0
	v_and_b32_e32 v5, 0xffff, v10
	scratch_load_b32 v10, off, off offset:56 ; 4-byte Folded Reload
	v_lshl_or_b32 v0, v0, 16, v5
	scratch_load_b32 v5, off, off offset:88 ; 4-byte Folded Reload
	global_store_b32 v[12:13], v0, off
	v_lshrrev_b32_e32 v0, 16, v1
	v_add_co_u32 v12, s0, v12, s14
	s_delay_alu instid0(VALU_DEP_1) | instskip(SKIP_1) | instid1(VALU_DEP_3)
	v_add_co_ci_u32_e64 v13, s0, s15, v13, s0
	s_waitcnt vmcnt(0)
	v_mul_f16_e32 v23, v5, v0
	v_mul_f16_e32 v5, v5, v1
	s_delay_alu instid0(VALU_DEP_2) | instskip(NEXT) | instid1(VALU_DEP_2)
	v_fmac_f16_e32 v23, v10, v1
	v_fma_f16 v5, v10, v0, -v5
	v_cvt_f32_f16_e32 v0, v29
	s_delay_alu instid0(VALU_DEP_1) | instskip(NEXT) | instid1(VALU_DEP_1)
	v_cvt_f64_f32_e32 v[0:1], v0
	v_mul_f64 v[0:1], v[0:1], s[10:11]
	s_delay_alu instid0(VALU_DEP_1) | instskip(SKIP_1) | instid1(VALU_DEP_2)
	v_and_or_b32 v0, 0x1ff, v1, v0
	v_lshrrev_b32_e32 v10, 8, v1
	v_cmp_ne_u32_e64 s0, 0, v0
	s_delay_alu instid0(VALU_DEP_1) | instskip(NEXT) | instid1(VALU_DEP_1)
	v_cndmask_b32_e64 v0, 0, 1, s0
	v_and_or_b32 v0, 0xffe, v10, v0
	v_bfe_u32 v10, v1, 20, 11
	v_lshrrev_b32_e32 v1, 16, v1
	s_delay_alu instid0(VALU_DEP_3) | instskip(NEXT) | instid1(VALU_DEP_3)
	v_or_b32_e32 v22, 0x1000, v0
	v_sub_nc_u32_e32 v21, 0x3f1, v10
	v_add_nc_u32_e32 v10, 0xfffffc10, v10
	s_delay_alu instid0(VALU_DEP_2) | instskip(NEXT) | instid1(VALU_DEP_1)
	v_med3_i32 v21, v21, 0, 13
	v_lshrrev_b32_e32 v28, v21, v22
	s_delay_alu instid0(VALU_DEP_1) | instskip(NEXT) | instid1(VALU_DEP_1)
	v_lshlrev_b32_e32 v21, v21, v28
	v_cmp_ne_u32_e64 s4, v21, v22
	scratch_load_b32 v22, off, off offset:80 ; 4-byte Folded Reload
	v_lshrrev_b32_e32 v21, 16, v16
	s_waitcnt vmcnt(0)
	s_delay_alu instid0(VALU_DEP_1) | instskip(SKIP_1) | instid1(VALU_DEP_2)
	v_mul_f16_e32 v29, v22, v21
	v_mul_f16_e32 v22, v22, v16
	v_fmac_f16_e32 v29, v30, v16
	s_delay_alu instid0(VALU_DEP_2) | instskip(SKIP_1) | instid1(VALU_DEP_2)
	v_fma_f16 v16, v30, v21, -v22
	v_cvt_f64_f32_e32 v[21:22], v2
	v_cvt_f32_f16_e32 v16, v16
	s_delay_alu instid0(VALU_DEP_2) | instskip(NEXT) | instid1(VALU_DEP_1)
	v_mul_f64 v[21:22], v[21:22], s[10:11]
	v_and_or_b32 v2, 0x1ff, v22, v21
	v_lshrrev_b32_e32 v7, 8, v22
	s_delay_alu instid0(VALU_DEP_2) | instskip(NEXT) | instid1(VALU_DEP_1)
	v_cmp_ne_u32_e64 s0, 0, v2
	v_cndmask_b32_e64 v2, 0, 1, s0
	s_delay_alu instid0(VALU_DEP_1) | instskip(SKIP_1) | instid1(VALU_DEP_2)
	v_and_or_b32 v2, 0xffe, v7, v2
	v_bfe_u32 v7, v22, 20, 11
	v_or_b32_e32 v30, 0x1000, v2
	s_delay_alu instid0(VALU_DEP_2) | instskip(SKIP_2) | instid1(VALU_DEP_3)
	v_sub_nc_u32_e32 v21, 0x3f1, v7
	v_add_nc_u32_e32 v7, 0xfffffc10, v7
	v_cmp_ne_u32_e64 s3, 0, v2
	v_med3_i32 v21, v21, 0, 13
	s_delay_alu instid0(VALU_DEP_1) | instskip(NEXT) | instid1(VALU_DEP_1)
	v_lshrrev_b32_e32 v33, v21, v30
	v_lshlrev_b32_e32 v21, v21, v33
	s_delay_alu instid0(VALU_DEP_1) | instskip(SKIP_1) | instid1(VALU_DEP_2)
	v_cmp_ne_u32_e64 s0, v21, v30
	v_lshl_or_b32 v30, v7, 12, v2
	v_cndmask_b32_e64 v21, 0, 1, s0
	v_cmp_gt_i32_e64 s0, 1, v7
	s_delay_alu instid0(VALU_DEP_2) | instskip(NEXT) | instid1(VALU_DEP_1)
	v_or_b32_e32 v21, v33, v21
	v_cndmask_b32_e64 v21, v30, v21, s0
	v_cndmask_b32_e64 v30, 0, 1, s2
	v_cmp_gt_i32_e64 s0, 1, v25
	s_delay_alu instid0(VALU_DEP_2) | instskip(SKIP_1) | instid1(VALU_DEP_1)
	v_or_b32_e32 v26, v26, v30
	v_lshl_or_b32 v30, v25, 12, v14
	v_cndmask_b32_e64 v26, v30, v26, s0
	v_and_b32_e32 v30, 7, v21
	s_delay_alu instid0(VALU_DEP_2) | instskip(NEXT) | instid1(VALU_DEP_2)
	v_and_b32_e32 v2, 7, v26
	v_cmp_lt_i32_e64 s0, 5, v30
	v_cmp_eq_u32_e64 s2, 3, v30
	s_delay_alu instid0(VALU_DEP_3) | instskip(SKIP_2) | instid1(VALU_DEP_4)
	v_cmp_lt_i32_e64 s5, 5, v2
	v_cmp_eq_u32_e64 s6, 3, v2
	v_lshrrev_b32_e32 v2, 2, v21
	s_or_b32 s0, s2, s0
	v_cndmask_b32_e64 v21, 0, 1, s3
	s_delay_alu instid0(VALU_DEP_3) | instskip(NEXT) | instid1(VALU_DEP_2)
	s_or_b32 s2, s6, s5
	v_add_co_ci_u32_e64 v2, s0, 0, v2, s0
	v_cmp_gt_i32_e64 s0, 31, v7
	s_delay_alu instid0(VALU_DEP_3) | instskip(NEXT) | instid1(VALU_DEP_2)
	v_lshl_or_b32 v21, v21, 9, 0x7c00
	v_cndmask_b32_e64 v2, 0x7c00, v2, s0
	v_cmp_eq_u32_e64 s0, 0x40f, v7
	v_lshrrev_b32_e32 v7, 16, v22
	s_delay_alu instid0(VALU_DEP_2) | instskip(SKIP_2) | instid1(VALU_DEP_3)
	v_cndmask_b32_e64 v2, v2, v21, s0
	v_cmp_ne_u32_e64 s0, 0, v14
	v_lshrrev_b32_e32 v14, 2, v26
	v_and_or_b32 v2, 0x8000, v7, v2
	s_delay_alu instid0(VALU_DEP_3) | instskip(NEXT) | instid1(VALU_DEP_3)
	v_cndmask_b32_e64 v21, 0, 1, s0
	v_add_co_ci_u32_e64 v14, s2, 0, v14, s2
	v_cmp_gt_i32_e64 s2, 31, v25
	v_cmp_eq_u32_e64 s0, 0x40f, v25
	s_delay_alu instid0(VALU_DEP_4) | instskip(SKIP_1) | instid1(VALU_DEP_4)
	v_lshl_or_b32 v21, v21, 9, 0x7c00
	v_and_b32_e32 v2, 0xffff, v2
	v_cndmask_b32_e64 v14, 0x7c00, v14, s2
	s_delay_alu instid0(VALU_DEP_1) | instskip(NEXT) | instid1(VALU_DEP_1)
	v_cndmask_b32_e64 v14, v14, v21, s0
	v_and_or_b32 v7, 0x8000, v15, v14
	s_delay_alu instid0(VALU_DEP_1) | instskip(SKIP_3) | instid1(VALU_DEP_1)
	v_lshl_or_b32 v2, v7, 16, v2
	global_store_b32 v[12:13], v2, off
	v_cvt_f32_f16_e32 v2, v5
	v_add_co_u32 v12, s0, v12, s16
	v_add_co_ci_u32_e64 v13, s0, s17, v13, s0
	s_delay_alu instid0(VALU_DEP_3) | instskip(NEXT) | instid1(VALU_DEP_1)
	v_cvt_f64_f32_e32 v[14:15], v2
	v_mul_f64 v[14:15], v[14:15], s[10:11]
	s_delay_alu instid0(VALU_DEP_1) | instskip(SKIP_2) | instid1(VALU_DEP_3)
	v_and_or_b32 v2, 0x1ff, v15, v14
	v_lshrrev_b32_e32 v5, 8, v15
	v_bfe_u32 v14, v15, 20, 11
	v_cmp_ne_u32_e64 s0, 0, v2
	s_delay_alu instid0(VALU_DEP_1) | instskip(NEXT) | instid1(VALU_DEP_1)
	v_cndmask_b32_e64 v2, 0, 1, s0
	v_and_or_b32 v7, 0xffe, v5, v2
	s_delay_alu instid0(VALU_DEP_4) | instskip(SKIP_1) | instid1(VALU_DEP_3)
	v_sub_nc_u32_e32 v2, 0x3f1, v14
	v_add_nc_u32_e32 v14, 0xfffffc10, v14
	v_or_b32_e32 v5, 0x1000, v7
	s_delay_alu instid0(VALU_DEP_3) | instskip(NEXT) | instid1(VALU_DEP_1)
	v_med3_i32 v2, v2, 0, 13
	v_lshrrev_b32_e32 v25, v2, v5
	s_delay_alu instid0(VALU_DEP_1) | instskip(NEXT) | instid1(VALU_DEP_1)
	v_lshlrev_b32_e32 v2, v2, v25
	v_cmp_ne_u32_e64 s0, v2, v5
	v_cvt_f32_f16_e32 v2, v24
	s_delay_alu instid0(VALU_DEP_1) | instskip(NEXT) | instid1(VALU_DEP_1)
	v_cvt_f64_f32_e32 v[21:22], v2
	v_mul_f64 v[21:22], v[21:22], s[10:11]
	s_delay_alu instid0(VALU_DEP_1) | instskip(SKIP_1) | instid1(VALU_DEP_2)
	v_and_or_b32 v2, 0x1ff, v22, v21
	v_lshrrev_b32_e32 v5, 8, v22
	v_cmp_ne_u32_e64 s2, 0, v2
	s_delay_alu instid0(VALU_DEP_1) | instskip(NEXT) | instid1(VALU_DEP_1)
	v_cndmask_b32_e64 v2, 0, 1, s2
	v_and_or_b32 v2, 0xffe, v5, v2
	v_bfe_u32 v5, v22, 20, 11
	s_delay_alu instid0(VALU_DEP_2) | instskip(NEXT) | instid1(VALU_DEP_2)
	v_or_b32_e32 v24, 0x1000, v2
	v_sub_nc_u32_e32 v21, 0x3f1, v5
	v_add_nc_u32_e32 v5, 0xfffffc10, v5
	v_cmp_ne_u32_e64 s5, 0, v2
	s_delay_alu instid0(VALU_DEP_3) | instskip(NEXT) | instid1(VALU_DEP_1)
	v_med3_i32 v21, v21, 0, 13
	v_lshrrev_b32_e32 v26, v21, v24
	s_delay_alu instid0(VALU_DEP_1) | instskip(NEXT) | instid1(VALU_DEP_1)
	v_lshlrev_b32_e32 v21, v21, v26
	v_cmp_ne_u32_e64 s2, v21, v24
	v_lshl_or_b32 v24, v5, 12, v2
	v_cndmask_b32_e64 v2, 0, 1, s1
	s_delay_alu instid0(VALU_DEP_3) | instskip(SKIP_1) | instid1(VALU_DEP_3)
	v_cndmask_b32_e64 v21, 0, 1, s2
	v_cmp_gt_i32_e64 s2, 1, v5
	v_or_b32_e32 v2, v32, v2
	s_delay_alu instid0(VALU_DEP_3) | instskip(NEXT) | instid1(VALU_DEP_1)
	v_or_b32_e32 v21, v26, v21
	v_cndmask_b32_e64 v21, v24, v21, s2
	s_delay_alu instid0(VALU_DEP_1) | instskip(SKIP_1) | instid1(VALU_DEP_2)
	v_and_b32_e32 v24, 7, v21
	v_lshrrev_b32_e32 v21, 2, v21
	v_cmp_lt_i32_e64 s2, 5, v24
	v_cmp_eq_u32_e64 s3, 3, v24
	v_add_nc_u32_e32 v24, 0xfffffc10, v31
	s_delay_alu instid0(VALU_DEP_1) | instskip(SKIP_1) | instid1(VALU_DEP_1)
	v_lshl_or_b32 v26, v24, 12, v19
	v_cmp_gt_i32_e64 s1, 1, v24
	v_cndmask_b32_e64 v2, v26, v2, s1
	s_or_b32 s1, s3, s2
	v_cndmask_b32_e64 v26, 0, 1, s5
	v_add_co_ci_u32_e64 v21, s1, 0, v21, s1
	v_cmp_gt_i32_e64 s1, 31, v5
	v_cmp_ne_u32_e64 s3, 0, v19
	s_delay_alu instid0(VALU_DEP_4) | instskip(NEXT) | instid1(VALU_DEP_3)
	v_lshl_or_b32 v26, v26, 9, 0x7c00
	v_cndmask_b32_e64 v21, 0x7c00, v21, s1
	v_cmp_eq_u32_e64 s1, 0x40f, v5
	s_delay_alu instid0(VALU_DEP_4) | instskip(NEXT) | instid1(VALU_DEP_2)
	v_cndmask_b32_e64 v19, 0, 1, s3
	v_cndmask_b32_e64 v5, v21, v26, s1
	v_lshrrev_b32_e32 v21, 16, v22
	v_and_b32_e32 v22, 7, v2
	v_lshrrev_b32_e32 v2, 2, v2
	v_lshl_or_b32 v19, v19, 9, 0x7c00
	s_delay_alu instid0(VALU_DEP_4) | instskip(NEXT) | instid1(VALU_DEP_4)
	v_and_or_b32 v5, 0x8000, v21, v5
	v_cmp_lt_i32_e64 s1, 5, v22
	v_cmp_eq_u32_e64 s2, 3, v22
	s_delay_alu instid0(VALU_DEP_3) | instskip(NEXT) | instid1(VALU_DEP_2)
	v_and_b32_e32 v5, 0xffff, v5
	s_or_b32 s1, s2, s1
	s_delay_alu instid0(SALU_CYCLE_1) | instskip(SKIP_1) | instid1(VALU_DEP_1)
	v_add_co_ci_u32_e64 v2, s1, 0, v2, s1
	v_cmp_gt_i32_e64 s1, 31, v24
	v_cndmask_b32_e64 v2, 0x7c00, v2, s1
	v_cmp_eq_u32_e64 s1, 0x40f, v24
	s_delay_alu instid0(VALU_DEP_1)
	v_cndmask_b32_e64 v2, v2, v19, s1
	v_lshrrev_b32_e32 v19, 16, v20
	scratch_load_b32 v20, off, off offset:40 ; 4-byte Folded Reload
	v_and_or_b32 v2, 0x8000, v19, v2
	scratch_load_b32 v19, off, off offset:60 ; 4-byte Folded Reload
	v_lshl_or_b32 v2, v2, 16, v5
	global_store_b32 v[12:13], v2, off
	v_lshrrev_b32_e32 v2, 16, v3
	v_add_co_u32 v12, s1, v12, s14
	s_delay_alu instid0(VALU_DEP_1) | instskip(SKIP_1) | instid1(VALU_DEP_3)
	v_add_co_ci_u32_e64 v13, s1, s15, v13, s1
	s_waitcnt vmcnt(0)
	v_mul_f16_e32 v5, v19, v2
	v_mul_f16_e32 v19, v19, v3
	s_delay_alu instid0(VALU_DEP_2) | instskip(SKIP_1) | instid1(VALU_DEP_3)
	v_fmac_f16_e32 v5, v20, v3
	v_cvt_f32_f16_e32 v3, v29
	v_fma_f16 v24, v20, v2, -v19
	s_delay_alu instid0(VALU_DEP_3) | instskip(NEXT) | instid1(VALU_DEP_3)
	v_cvt_f32_f16_e32 v5, v5
	v_cvt_f64_f32_e32 v[2:3], v3
	s_delay_alu instid0(VALU_DEP_1) | instskip(NEXT) | instid1(VALU_DEP_1)
	v_mul_f64 v[2:3], v[2:3], s[10:11]
	v_and_or_b32 v2, 0x1ff, v3, v2
	v_lshrrev_b32_e32 v19, 8, v3
	v_bfe_u32 v26, v3, 20, 11
	v_lshrrev_b32_e32 v3, 16, v3
	s_delay_alu instid0(VALU_DEP_4) | instskip(NEXT) | instid1(VALU_DEP_1)
	v_cmp_ne_u32_e64 s1, 0, v2
	v_cndmask_b32_e64 v2, 0, 1, s1
	s_delay_alu instid0(VALU_DEP_1) | instskip(SKIP_1) | instid1(VALU_DEP_2)
	v_and_or_b32 v2, 0xffe, v19, v2
	v_sub_nc_u32_e32 v19, 0x3f1, v26
	v_or_b32_e32 v20, 0x1000, v2
	s_delay_alu instid0(VALU_DEP_2) | instskip(NEXT) | instid1(VALU_DEP_1)
	v_med3_i32 v19, v19, 0, 13
	v_lshrrev_b32_e32 v29, v19, v20
	s_delay_alu instid0(VALU_DEP_1) | instskip(NEXT) | instid1(VALU_DEP_1)
	v_lshlrev_b32_e32 v19, v19, v29
	v_cmp_ne_u32_e64 s2, v19, v20
	v_cvt_f64_f32_e32 v[19:20], v16
	s_delay_alu instid0(VALU_DEP_1) | instskip(NEXT) | instid1(VALU_DEP_1)
	v_mul_f64 v[19:20], v[19:20], s[10:11]
	v_and_or_b32 v16, 0x1ff, v20, v19
	v_lshrrev_b32_e32 v19, 8, v20
	s_delay_alu instid0(VALU_DEP_2) | instskip(NEXT) | instid1(VALU_DEP_1)
	v_cmp_ne_u32_e64 s1, 0, v16
	v_cndmask_b32_e64 v16, 0, 1, s1
	s_delay_alu instid0(VALU_DEP_1) | instskip(SKIP_1) | instid1(VALU_DEP_2)
	v_and_or_b32 v16, 0xffe, v19, v16
	v_bfe_u32 v19, v20, 20, 11
	v_or_b32_e32 v22, 0x1000, v16
	s_delay_alu instid0(VALU_DEP_2) | instskip(SKIP_1) | instid1(VALU_DEP_2)
	v_sub_nc_u32_e32 v21, 0x3f1, v19
	v_add_nc_u32_e32 v19, 0xfffffc10, v19
	v_med3_i32 v21, v21, 0, 13
	s_delay_alu instid0(VALU_DEP_1) | instskip(NEXT) | instid1(VALU_DEP_1)
	v_lshrrev_b32_e32 v30, v21, v22
	v_lshlrev_b32_e32 v21, v21, v30
	s_delay_alu instid0(VALU_DEP_1) | instskip(SKIP_1) | instid1(VALU_DEP_1)
	v_cmp_ne_u32_e64 s3, v21, v22
	v_cvt_f32_f16_e32 v21, v27
	v_cvt_f64_f32_e32 v[21:22], v21
	s_delay_alu instid0(VALU_DEP_1) | instskip(NEXT) | instid1(VALU_DEP_1)
	v_mul_f64 v[21:22], v[21:22], s[10:11]
	v_and_or_b32 v21, 0x1ff, v22, v21
	v_lshrrev_b32_e32 v27, 8, v22
	s_delay_alu instid0(VALU_DEP_2) | instskip(NEXT) | instid1(VALU_DEP_1)
	v_cmp_ne_u32_e64 s1, 0, v21
	v_cndmask_b32_e64 v21, 0, 1, s1
	s_delay_alu instid0(VALU_DEP_1) | instskip(SKIP_2) | instid1(VALU_DEP_3)
	v_and_or_b32 v21, 0xffe, v27, v21
	v_bfe_u32 v27, v22, 20, 11
	v_lshrrev_b32_e32 v22, 16, v22
	v_or_b32_e32 v32, 0x1000, v21
	s_delay_alu instid0(VALU_DEP_3) | instskip(SKIP_2) | instid1(VALU_DEP_3)
	v_sub_nc_u32_e32 v31, 0x3f1, v27
	v_add_nc_u32_e32 v27, 0xfffffc10, v27
	v_cmp_ne_u32_e64 s6, 0, v21
	v_med3_i32 v31, v31, 0, 13
	s_delay_alu instid0(VALU_DEP_1) | instskip(NEXT) | instid1(VALU_DEP_1)
	v_lshrrev_b32_e32 v33, v31, v32
	v_lshlrev_b32_e32 v31, v31, v33
	s_delay_alu instid0(VALU_DEP_1) | instskip(SKIP_3) | instid1(VALU_DEP_4)
	v_cmp_ne_u32_e64 s1, v31, v32
	v_lshl_or_b32 v32, v27, 12, v21
	v_cndmask_b32_e64 v21, 0, 1, s4
	v_cmp_gt_i32_e64 s4, 1, v10
	v_cndmask_b32_e64 v31, 0, 1, s1
	v_cmp_gt_i32_e64 s1, 1, v27
	s_delay_alu instid0(VALU_DEP_4) | instskip(SKIP_1) | instid1(VALU_DEP_4)
	v_or_b32_e32 v21, v28, v21
	v_lshl_or_b32 v28, v10, 12, v0
	v_or_b32_e32 v31, v33, v31
	s_delay_alu instid0(VALU_DEP_2) | instskip(NEXT) | instid1(VALU_DEP_2)
	v_cndmask_b32_e64 v21, v28, v21, s4
	v_cndmask_b32_e64 v31, v32, v31, s1
	s_delay_alu instid0(VALU_DEP_1) | instskip(SKIP_2) | instid1(VALU_DEP_3)
	v_and_b32_e32 v32, 7, v31
	v_lshrrev_b32_e32 v28, 2, v31
	v_cndmask_b32_e64 v31, 0, 1, s6
	v_cmp_lt_i32_e64 s1, 5, v32
	v_cmp_eq_u32_e64 s5, 3, v32
	s_delay_alu instid0(VALU_DEP_3) | instskip(NEXT) | instid1(VALU_DEP_2)
	v_lshl_or_b32 v31, v31, 9, 0x7c00
	s_or_b32 s1, s5, s1
	v_cmp_ne_u32_e64 s5, 0, v0
	v_add_co_ci_u32_e64 v28, s1, 0, v28, s1
	v_cmp_gt_i32_e64 s1, 31, v27
	v_lshrrev_b32_e32 v0, 2, v21
	s_delay_alu instid0(VALU_DEP_2) | instskip(SKIP_1) | instid1(VALU_DEP_1)
	v_cndmask_b32_e64 v28, 0x7c00, v28, s1
	v_cmp_eq_u32_e64 s1, 0x40f, v27
	v_cndmask_b32_e64 v27, v28, v31, s1
	v_and_b32_e32 v28, 7, v21
	v_cndmask_b32_e64 v21, 0, 1, s5
	s_delay_alu instid0(VALU_DEP_2) | instskip(SKIP_1) | instid1(VALU_DEP_3)
	v_cmp_lt_i32_e64 s1, 5, v28
	v_cmp_eq_u32_e64 s4, 3, v28
	v_lshl_or_b32 v21, v21, 9, 0x7c00
	s_delay_alu instid0(VALU_DEP_2) | instskip(NEXT) | instid1(SALU_CYCLE_1)
	s_or_b32 s1, s4, s1
	v_add_co_ci_u32_e64 v0, s1, 0, v0, s1
	v_cmp_gt_i32_e64 s1, 31, v10
	s_delay_alu instid0(VALU_DEP_1) | instskip(SKIP_2) | instid1(VALU_DEP_2)
	v_cndmask_b32_e64 v0, 0x7c00, v0, s1
	v_cmp_eq_u32_e64 s1, 0x40f, v10
	v_and_or_b32 v10, 0x8000, v22, v27
	v_cndmask_b32_e64 v0, v0, v21, s1
	s_delay_alu instid0(VALU_DEP_1) | instskip(NEXT) | instid1(VALU_DEP_3)
	v_and_or_b32 v0, 0x8000, v1, v0
	v_and_b32_e32 v1, 0xffff, v10
	scratch_load_b32 v10, off, off offset:36 ; 4-byte Folded Reload
	v_lshl_or_b32 v0, v0, 16, v1
	scratch_load_b32 v1, off, off offset:48 ; 4-byte Folded Reload
	global_store_b32 v[12:13], v0, off
	v_lshrrev_b32_e32 v0, 16, v11
	v_add_co_u32 v12, s1, v12, s14
	s_delay_alu instid0(VALU_DEP_1) | instskip(SKIP_1) | instid1(VALU_DEP_3)
	v_add_co_ci_u32_e64 v13, s1, s15, v13, s1
	s_waitcnt vmcnt(0)
	v_mul_f16_e32 v21, v1, v0
	v_mul_f16_e32 v1, v1, v11
	s_delay_alu instid0(VALU_DEP_2) | instskip(NEXT) | instid1(VALU_DEP_2)
	v_fmac_f16_e32 v21, v10, v11
	v_fma_f16 v27, v10, v0, -v1
	v_cvt_f64_f32_e32 v[0:1], v5
	s_delay_alu instid0(VALU_DEP_1) | instskip(NEXT) | instid1(VALU_DEP_1)
	v_mul_f64 v[0:1], v[0:1], s[10:11]
	v_and_or_b32 v0, 0x1ff, v1, v0
	v_lshrrev_b32_e32 v5, 8, v1
	v_bfe_u32 v28, v1, 20, 11
	s_delay_alu instid0(VALU_DEP_3) | instskip(NEXT) | instid1(VALU_DEP_1)
	v_cmp_ne_u32_e64 s1, 0, v0
	v_cndmask_b32_e64 v0, 0, 1, s1
	s_delay_alu instid0(VALU_DEP_1) | instskip(NEXT) | instid1(VALU_DEP_4)
	v_and_or_b32 v0, 0xffe, v5, v0
	v_sub_nc_u32_e32 v5, 0x3f1, v28
	s_delay_alu instid0(VALU_DEP_2) | instskip(NEXT) | instid1(VALU_DEP_2)
	v_or_b32_e32 v10, 0x1000, v0
	v_med3_i32 v5, v5, 0, 13
	s_delay_alu instid0(VALU_DEP_1) | instskip(NEXT) | instid1(VALU_DEP_1)
	v_lshrrev_b32_e32 v31, v5, v10
	v_lshlrev_b32_e32 v5, v5, v31
	s_delay_alu instid0(VALU_DEP_1) | instskip(SKIP_1) | instid1(VALU_DEP_1)
	v_cmp_ne_u32_e64 s4, v5, v10
	v_cvt_f32_f16_e32 v5, v24
	v_cvt_f64_f32_e32 v[10:11], v5
	s_delay_alu instid0(VALU_DEP_1) | instskip(NEXT) | instid1(VALU_DEP_1)
	v_mul_f64 v[10:11], v[10:11], s[10:11]
	v_and_or_b32 v5, 0x1ff, v11, v10
	v_lshrrev_b32_e32 v10, 8, v11
	v_bfe_u32 v24, v11, 20, 11
	v_lshrrev_b32_e32 v11, 16, v11
	s_delay_alu instid0(VALU_DEP_4) | instskip(NEXT) | instid1(VALU_DEP_1)
	v_cmp_ne_u32_e64 s1, 0, v5
	v_cndmask_b32_e64 v5, 0, 1, s1
	s_delay_alu instid0(VALU_DEP_1) | instskip(SKIP_1) | instid1(VALU_DEP_2)
	v_and_or_b32 v10, 0xffe, v10, v5
	v_sub_nc_u32_e32 v5, 0x3f1, v24
	v_or_b32_e32 v22, 0x1000, v10
	s_delay_alu instid0(VALU_DEP_2) | instskip(NEXT) | instid1(VALU_DEP_1)
	v_med3_i32 v5, v5, 0, 13
	v_lshrrev_b32_e32 v32, v5, v22
	s_delay_alu instid0(VALU_DEP_1) | instskip(NEXT) | instid1(VALU_DEP_1)
	v_lshlrev_b32_e32 v5, v5, v32
	v_cmp_ne_u32_e64 s5, v5, v22
	scratch_load_b32 v22, off, off offset:44 ; 4-byte Folded Reload
	v_lshrrev_b32_e32 v5, 16, v6
	s_waitcnt vmcnt(0)
	s_delay_alu instid0(VALU_DEP_1) | instskip(SKIP_1) | instid1(VALU_DEP_2)
	v_mul_f16_e32 v33, v22, v5
	v_mul_f16_e32 v22, v22, v6
	v_fmac_f16_e32 v33, v34, v6
	s_delay_alu instid0(VALU_DEP_2) | instskip(SKIP_1) | instid1(VALU_DEP_1)
	v_fma_f16 v34, v34, v5, -v22
	v_cvt_f32_f16_e32 v5, v21
	v_cvt_f64_f32_e32 v[5:6], v5
	s_delay_alu instid0(VALU_DEP_1) | instskip(NEXT) | instid1(VALU_DEP_1)
	v_mul_f64 v[5:6], v[5:6], s[10:11]
	v_and_or_b32 v5, 0x1ff, v6, v5
	v_lshrrev_b32_e32 v21, 8, v6
	v_bfe_u32 v35, v6, 20, 11
	s_delay_alu instid0(VALU_DEP_3) | instskip(NEXT) | instid1(VALU_DEP_1)
	v_cmp_ne_u32_e64 s1, 0, v5
	v_cndmask_b32_e64 v5, 0, 1, s1
	s_delay_alu instid0(VALU_DEP_1) | instskip(NEXT) | instid1(VALU_DEP_4)
	v_and_or_b32 v5, 0xffe, v21, v5
	v_sub_nc_u32_e32 v21, 0x3f1, v35
	s_delay_alu instid0(VALU_DEP_2) | instskip(NEXT) | instid1(VALU_DEP_2)
	v_or_b32_e32 v22, 0x1000, v5
	v_med3_i32 v21, v21, 0, 13
	s_delay_alu instid0(VALU_DEP_1) | instskip(NEXT) | instid1(VALU_DEP_1)
	v_lshrrev_b32_e32 v36, v21, v22
	v_lshlrev_b32_e32 v21, v21, v36
	s_delay_alu instid0(VALU_DEP_1) | instskip(SKIP_1) | instid1(VALU_DEP_1)
	v_cmp_ne_u32_e64 s1, v21, v22
	v_cvt_f32_f16_e32 v21, v23
	v_cvt_f64_f32_e32 v[21:22], v21
	s_delay_alu instid0(VALU_DEP_1) | instskip(NEXT) | instid1(VALU_DEP_1)
	v_mul_f64 v[21:22], v[21:22], s[10:11]
	v_and_or_b32 v21, 0x1ff, v22, v21
	v_lshrrev_b32_e32 v23, 8, v22
	s_delay_alu instid0(VALU_DEP_2) | instskip(NEXT) | instid1(VALU_DEP_1)
	v_cmp_ne_u32_e64 s6, 0, v21
	v_cndmask_b32_e64 v21, 0, 1, s6
	s_delay_alu instid0(VALU_DEP_1) | instskip(SKIP_1) | instid1(VALU_DEP_2)
	v_and_or_b32 v21, 0xffe, v23, v21
	v_bfe_u32 v23, v22, 20, 11
	v_or_b32_e32 v38, 0x1000, v21
	s_delay_alu instid0(VALU_DEP_2) | instskip(SKIP_2) | instid1(VALU_DEP_3)
	v_sub_nc_u32_e32 v37, 0x3f1, v23
	v_add_nc_u32_e32 v23, 0xfffffc10, v23
	v_cmp_ne_u32_e64 s8, 0, v21
	v_med3_i32 v37, v37, 0, 13
	s_delay_alu instid0(VALU_DEP_1) | instskip(NEXT) | instid1(VALU_DEP_1)
	v_lshrrev_b32_e32 v39, v37, v38
	v_lshlrev_b32_e32 v37, v37, v39
	s_delay_alu instid0(VALU_DEP_1) | instskip(SKIP_2) | instid1(VALU_DEP_3)
	v_cmp_ne_u32_e64 s6, v37, v38
	v_lshl_or_b32 v38, v23, 12, v21
	v_cndmask_b32_e64 v21, 0, 1, s0
	v_cndmask_b32_e64 v37, 0, 1, s6
	v_cmp_gt_i32_e64 s6, 1, v23
	s_delay_alu instid0(VALU_DEP_3) | instskip(NEXT) | instid1(VALU_DEP_3)
	v_or_b32_e32 v21, v25, v21
	v_or_b32_e32 v37, v39, v37
	s_delay_alu instid0(VALU_DEP_1) | instskip(NEXT) | instid1(VALU_DEP_1)
	v_cndmask_b32_e64 v37, v38, v37, s6
	v_and_b32_e32 v38, 7, v37
	v_lshrrev_b32_e32 v25, 2, v37
	v_cndmask_b32_e64 v37, 0, 1, s8
	v_cmp_ne_u32_e64 s8, 0, v16
	s_delay_alu instid0(VALU_DEP_4) | instskip(SKIP_1) | instid1(VALU_DEP_4)
	v_cmp_lt_i32_e64 s6, 5, v38
	v_cmp_eq_u32_e64 s7, 3, v38
	v_lshl_or_b32 v37, v37, 9, 0x7c00
	s_delay_alu instid0(VALU_DEP_2) | instskip(SKIP_3) | instid1(VALU_DEP_1)
	s_or_b32 s0, s7, s6
	v_cmp_ne_u32_e64 s7, 0, v7
	v_add_co_ci_u32_e64 v25, s0, 0, v25, s0
	v_cmp_gt_i32_e64 s0, 31, v23
	v_cndmask_b32_e64 v25, 0x7c00, v25, s0
	v_cmp_eq_u32_e64 s0, 0x40f, v23
	s_delay_alu instid0(VALU_DEP_1) | instskip(SKIP_3) | instid1(VALU_DEP_3)
	v_cndmask_b32_e64 v23, v25, v37, s0
	v_lshrrev_b32_e32 v25, 16, v22
	v_lshl_or_b32 v22, v14, 12, v7
	v_cmp_gt_i32_e64 s0, 1, v14
	v_and_or_b32 v23, 0x8000, v25, v23
	s_delay_alu instid0(VALU_DEP_2) | instskip(SKIP_1) | instid1(VALU_DEP_3)
	v_cndmask_b32_e64 v37, v22, v21, s0
	v_cvt_f32_f16_e32 v21, v27
	v_and_b32_e32 v23, 0xffff, v23
	s_delay_alu instid0(VALU_DEP_3) | instskip(NEXT) | instid1(VALU_DEP_3)
	v_and_b32_e32 v25, 7, v37
	v_cvt_f64_f32_e32 v[21:22], v21
	v_lshrrev_b32_e32 v7, 2, v37
	s_delay_alu instid0(VALU_DEP_3) | instskip(NEXT) | instid1(VALU_DEP_3)
	v_cmp_eq_u32_e64 s6, 3, v25
	v_mul_f64 v[21:22], v[21:22], s[10:11]
	s_delay_alu instid0(VALU_DEP_1) | instskip(SKIP_1) | instid1(VALU_DEP_2)
	v_and_or_b32 v21, 0x1ff, v22, v21
	v_lshrrev_b32_e32 v27, 8, v22
	v_cmp_ne_u32_e64 s0, 0, v21
	s_delay_alu instid0(VALU_DEP_1) | instskip(SKIP_2) | instid1(VALU_DEP_3)
	v_cndmask_b32_e64 v21, 0, 1, s0
	v_cmp_lt_i32_e64 s0, 5, v25
	v_cndmask_b32_e64 v25, 0, 1, s7
	v_and_or_b32 v21, 0xffe, v27, v21
	s_delay_alu instid0(VALU_DEP_3) | instskip(NEXT) | instid1(VALU_DEP_2)
	s_or_b32 s0, s6, s0
	v_lshl_or_b32 v25, v25, 9, 0x7c00
	v_add_co_ci_u32_e64 v7, s0, 0, v7, s0
	v_cmp_gt_i32_e64 s0, 31, v14
	s_delay_alu instid0(VALU_DEP_1) | instskip(SKIP_3) | instid1(VALU_DEP_3)
	v_cndmask_b32_e64 v7, 0x7c00, v7, s0
	v_cmp_eq_u32_e64 s0, 0x40f, v14
	v_lshrrev_b32_e32 v14, 16, v15
	v_cndmask_b32_e64 v15, 0, 1, s2
	v_cndmask_b32_e64 v7, v7, v25, s0
	s_delay_alu instid0(VALU_DEP_2) | instskip(NEXT) | instid1(VALU_DEP_2)
	v_or_b32_e32 v15, v29, v15
	v_and_or_b32 v7, 0x8000, v14, v7
	v_add_nc_u32_e32 v14, 0xfffffc10, v26
	s_delay_alu instid0(VALU_DEP_2) | instskip(NEXT) | instid1(VALU_DEP_2)
	v_lshl_or_b32 v7, v7, 16, v23
	v_lshl_or_b32 v25, v14, 12, v2
	v_cmp_gt_i32_e64 s0, 1, v14
	v_cndmask_b32_e64 v23, 0, 1, s3
	v_cmp_ne_u32_e64 s3, 0, v2
	global_store_b32 v[12:13], v7, off
	v_cndmask_b32_e64 v15, v25, v15, s0
	v_or_b32_e32 v23, v30, v23
	v_lshl_or_b32 v25, v19, 12, v16
	v_cmp_gt_i32_e64 s0, 1, v19
	v_cndmask_b32_e64 v16, 0, 1, s4
	s_delay_alu instid0(VALU_DEP_2) | instskip(SKIP_1) | instid1(VALU_DEP_3)
	v_cndmask_b32_e64 v23, v25, v23, s0
	v_and_b32_e32 v25, 7, v15
	v_or_b32_e32 v16, v31, v16
	s_delay_alu instid0(VALU_DEP_3) | instskip(NEXT) | instid1(VALU_DEP_3)
	v_and_b32_e32 v2, 7, v23
	v_cmp_lt_i32_e64 s0, 5, v25
	v_cmp_eq_u32_e64 s2, 3, v25
	v_cvt_f32_f16_e32 v25, v33
	s_delay_alu instid0(VALU_DEP_4) | instskip(SKIP_4) | instid1(VALU_DEP_2)
	v_cmp_lt_i32_e64 s6, 5, v2
	v_cmp_eq_u32_e64 s7, 3, v2
	v_lshrrev_b32_e32 v2, 2, v15
	s_or_b32 s0, s2, s0
	v_cndmask_b32_e64 v15, 0, 1, s3
	v_add_co_ci_u32_e64 v2, s0, 0, v2, s0
	v_cmp_gt_i32_e64 s0, 31, v14
	s_delay_alu instid0(VALU_DEP_3) | instskip(NEXT) | instid1(VALU_DEP_2)
	v_lshl_or_b32 v15, v15, 9, 0x7c00
	v_cndmask_b32_e64 v2, 0x7c00, v2, s0
	v_cmp_eq_u32_e64 s0, 0x40f, v14
	v_lshrrev_b32_e32 v14, 2, v23
	v_add_nc_u32_e32 v23, 0xfffffc10, v24
	s_delay_alu instid0(VALU_DEP_3)
	v_cndmask_b32_e64 v2, v2, v15, s0
	s_or_b32 s0, s7, s6
	v_cndmask_b32_e64 v15, 0, 1, s8
	v_add_co_ci_u32_e64 v14, s0, 0, v14, s0
	v_cmp_gt_i32_e64 s0, 31, v19
	v_lshl_or_b32 v24, v23, 12, v10
	s_delay_alu instid0(VALU_DEP_4) | instskip(NEXT) | instid1(VALU_DEP_3)
	v_lshl_or_b32 v15, v15, 9, 0x7c00
	v_cndmask_b32_e64 v14, 0x7c00, v14, s0
	v_cmp_eq_u32_e64 s0, 0x40f, v19
	v_add_nc_u32_e32 v19, 0xfffffc10, v28
	v_lshrrev_b32_e32 v28, 16, v1
	s_delay_alu instid0(VALU_DEP_3) | instskip(SKIP_1) | instid1(VALU_DEP_4)
	v_cndmask_b32_e64 v14, v14, v15, s0
	v_lshrrev_b32_e32 v15, 16, v20
	v_lshl_or_b32 v20, v19, 12, v0
	v_cmp_gt_i32_e64 s0, 1, v19
	v_cmp_gt_i32_e64 s3, 31, v19
	s_delay_alu instid0(VALU_DEP_4) | instskip(NEXT) | instid1(VALU_DEP_3)
	v_and_or_b32 v14, 0x8000, v15, v14
	v_cndmask_b32_e64 v16, v20, v16, s0
	v_cndmask_b32_e64 v20, 0, 1, s5
	v_cmp_gt_i32_e64 s0, 1, v23
	s_delay_alu instid0(VALU_DEP_2) | instskip(NEXT) | instid1(VALU_DEP_1)
	v_or_b32_e32 v20, v32, v20
	v_cndmask_b32_e64 v20, v24, v20, s0
	v_and_b32_e32 v24, 7, v16
	v_lshrrev_b32_e32 v16, 2, v16
	s_delay_alu instid0(VALU_DEP_3) | instskip(NEXT) | instid1(VALU_DEP_3)
	v_and_b32_e32 v26, 7, v20
	v_cmp_lt_i32_e64 s0, 5, v24
	v_cmp_eq_u32_e64 s2, 3, v24
	v_and_or_b32 v24, 0x8000, v3, v2
	v_cvt_f64_f32_e32 v[2:3], v25
	v_bfe_u32 v25, v22, 20, 11
	s_delay_alu instid0(VALU_DEP_4)
	s_or_b32 s0, s2, s0
	v_cmp_eq_u32_e64 s2, 3, v26
	v_add_co_ci_u32_e64 v16, s0, 0, v16, s0
	v_cmp_ne_u32_e64 s0, 0, v0
	v_and_b32_e32 v15, 0xffff, v24
	v_lshrrev_b32_e32 v24, 16, v9
	s_delay_alu instid0(VALU_DEP_4)
	v_cndmask_b32_e64 v16, 0x7c00, v16, s3
	v_cmp_eq_u32_e64 s3, 0x40f, v19
	v_cndmask_b32_e64 v0, 0, 1, s0
	v_cmp_lt_i32_e64 s0, 5, v26
	v_cvt_f32_f16_e32 v26, v34
	v_lshl_or_b32 v7, v14, 16, v15
	v_sub_nc_u32_e32 v19, 0x3f1, v25
	v_lshl_or_b32 v0, v0, 9, 0x7c00
	s_or_b32 s0, s2, s0
	s_delay_alu instid0(VALU_DEP_2) | instskip(NEXT) | instid1(VALU_DEP_2)
	v_med3_i32 v19, v19, 0, 13
	v_cndmask_b32_e64 v16, v16, v0, s3
	v_lshrrev_b32_e32 v0, 2, v20
	v_or_b32_e32 v20, 0x1000, v21
	s_delay_alu instid0(VALU_DEP_3) | instskip(NEXT) | instid1(VALU_DEP_3)
	v_and_or_b32 v16, 0x8000, v28, v16
	v_add_co_ci_u32_e64 v27, s0, 0, v0, s0
	v_cmp_ne_u32_e64 s0, 0, v10
	v_cvt_f64_f32_e32 v[0:1], v26
	s_delay_alu instid0(VALU_DEP_2) | instskip(SKIP_2) | instid1(VALU_DEP_3)
	v_cndmask_b32_e64 v10, 0, 1, s0
	v_cmp_gt_i32_e64 s0, 31, v23
	v_mul_f64 v[2:3], v[2:3], s[10:11]
	v_lshl_or_b32 v10, v10, 9, 0x7c00
	s_delay_alu instid0(VALU_DEP_3) | instskip(SKIP_3) | instid1(VALU_DEP_3)
	v_cndmask_b32_e64 v26, 0x7c00, v27, s0
	v_cmp_eq_u32_e64 s0, 0x40f, v23
	v_add_nc_u32_e32 v27, 0xfffffc10, v35
	v_lshrrev_b32_e32 v23, v19, v20
	v_cndmask_b32_e64 v10, v26, v10, s0
	v_cndmask_b32_e64 v26, 0, 1, s1
	s_delay_alu instid0(VALU_DEP_4)
	v_lshl_or_b32 v29, v27, 12, v5
	v_cmp_gt_i32_e64 s0, 1, v27
	v_lshlrev_b32_e32 v19, v19, v23
	v_and_or_b32 v10, 0x8000, v11, v10
	v_or_b32_e32 v26, v36, v26
	v_and_b32_e32 v11, 0xffff, v16
	s_delay_alu instid0(VALU_DEP_4) | instskip(NEXT) | instid1(VALU_DEP_3)
	v_cmp_ne_u32_e64 s1, v19, v20
	v_cndmask_b32_e64 v26, v29, v26, s0
	scratch_load_b32 v29, off, off offset:28 ; 4-byte Folded Reload
	v_lshl_or_b32 v28, v10, 16, v11
	v_cndmask_b32_e64 v10, 0, 1, s1
	v_and_b32_e32 v16, 7, v26
	v_lshrrev_b32_e32 v15, 2, v26
	scratch_load_b32 v26, off, off offset:24 ; 4-byte Folded Reload
	v_or_b32_e32 v19, v23, v10
	v_lshrrev_b32_e32 v23, 16, v6
	v_cmp_lt_i32_e64 s0, 5, v16
	v_cmp_eq_u32_e64 s1, 3, v16
	v_mul_f64 v[10:11], v[0:1], s[10:11]
	v_add_nc_u32_e32 v16, 0xfffffc10, v25
	s_delay_alu instid0(VALU_DEP_3) | instskip(NEXT) | instid1(SALU_CYCLE_1)
	s_or_b32 s0, s1, s0
	v_add_co_ci_u32_e64 v1, s0, 0, v15, s0
	v_cmp_ne_u32_e64 s0, 0, v5
	s_delay_alu instid0(VALU_DEP_3) | instskip(SKIP_1) | instid1(VALU_DEP_3)
	v_lshl_or_b32 v0, v16, 12, v21
	v_bfe_u32 v20, v3, 20, 11
	v_cndmask_b32_e64 v5, 0, 1, s0
	v_cmp_gt_i32_e64 s0, 1, v16
	s_delay_alu instid0(VALU_DEP_1) | instskip(SKIP_3) | instid1(VALU_DEP_4)
	v_cndmask_b32_e64 v19, v0, v19, s0
	v_cmp_gt_i32_e64 s0, 31, v27
	v_and_or_b32 v0, 0x1ff, v3, v2
	v_lshl_or_b32 v2, v5, 9, 0x7c00
	v_and_b32_e32 v5, 7, v19
	s_delay_alu instid0(VALU_DEP_4)
	v_cndmask_b32_e64 v1, 0x7c00, v1, s0
	v_cmp_eq_u32_e64 s0, 0x40f, v27
	scratch_load_b32 v27, off, off offset:16 ; 4-byte Folded Reload
	v_cmp_ne_u32_e64 s1, 0, v0
	v_lshrrev_b32_e32 v6, 2, v19
	v_cndmask_b32_e64 v2, v1, v2, s0
	v_lshrrev_b32_e32 v1, 8, v3
	s_delay_alu instid0(VALU_DEP_4)
	v_cndmask_b32_e64 v0, 0, 1, s1
	v_cmp_lt_i32_e64 s0, 5, v5
	v_cmp_eq_u32_e64 s1, 3, v5
	v_sub_nc_u32_e32 v5, 0x3f1, v20
	v_and_or_b32 v2, 0x8000, v23, v2
	v_and_or_b32 v25, 0xffe, v1, v0
	v_mad_u64_u32 v[0:1], null, 0x6c0, s12, v[12:13]
	s_or_b32 s0, s1, s0
	v_med3_i32 v5, v5, 0, 13
	v_add_co_ci_u32_e64 v6, s0, 0, v6, s0
	v_cmp_ne_u32_e64 s0, 0, v21
	v_or_b32_e32 v12, 0x1000, v25
	v_and_or_b32 v10, 0x1ff, v11, v10
	v_add_nc_u32_e32 v1, s9, v1
	v_and_b32_e32 v2, 0xffff, v2
	v_cndmask_b32_e64 v13, 0, 1, s0
	v_cmp_gt_i32_e64 s0, 31, v16
	v_lshrrev_b32_e32 v19, v5, v12
	v_lshrrev_b32_e32 v3, 16, v3
	s_delay_alu instid0(VALU_DEP_4) | instskip(NEXT) | instid1(VALU_DEP_4)
	v_lshl_or_b32 v13, v13, 9, 0x7c00
	v_cndmask_b32_e64 v21, 0x7c00, v6, s0
	v_cmp_ne_u32_e64 s0, 0, v10
	s_waitcnt vmcnt(2)
	v_mul_f16_e32 v14, v29, v24
	s_waitcnt vmcnt(1)
	s_delay_alu instid0(VALU_DEP_1)
	v_fmac_f16_e32 v14, v26, v9
	v_mul_f16_e32 v9, v29, v9
	scratch_load_b32 v29, off, off offset:20 ; 4-byte Folded Reload
	global_store_b32 v[17:18], v7, off
	global_store_b32 v[0:1], v28, off
	v_cvt_f32_f16_e32 v14, v14
	v_fma_f16 v9, v26, v24, -v9
	v_lshlrev_b32_e32 v24, v5, v19
	v_bfe_u32 v26, v11, 20, 11
	s_delay_alu instid0(VALU_DEP_4) | instskip(NEXT) | instid1(VALU_DEP_4)
	v_cvt_f64_f32_e32 v[14:15], v14
	v_cvt_f32_f16_e32 v9, v9
	s_delay_alu instid0(VALU_DEP_3) | instskip(NEXT) | instid1(VALU_DEP_2)
	v_add_nc_u32_e32 v17, 0xfffffc10, v26
	v_cvt_f64_f32_e32 v[9:10], v9
	s_delay_alu instid0(VALU_DEP_4)
	v_mul_f64 v[5:6], v[14:15], s[10:11]
	v_cndmask_b32_e64 v14, 0, 1, s0
	v_cmp_eq_u32_e64 s0, 0x40f, v16
	v_lshrrev_b32_e32 v15, 8, v11
	v_add_nc_u32_e32 v16, 0xfffffc10, v20
	v_lshrrev_b32_e32 v11, 16, v11
	v_mul_f64 v[9:10], v[9:10], s[10:11]
	v_cndmask_b32_e64 v13, v21, v13, s0
	v_cmp_ne_u32_e64 s0, v24, v12
	v_and_or_b32 v14, 0xffe, v15, v14
	v_sub_nc_u32_e32 v15, 0x3f1, v26
	v_lshrrev_b32_e32 v21, 16, v22
	v_lshrrev_b32_e32 v22, 16, v4
	v_cndmask_b32_e64 v12, 0, 1, s0
	v_or_b32_e32 v20, 0x1000, v14
	v_med3_i32 v15, v15, 0, 13
	v_cmp_gt_i32_e64 s0, 1, v16
	v_and_or_b32 v13, 0x8000, v21, v13
	v_or_b32_e32 v12, v19, v12
	v_lshl_or_b32 v19, v16, 12, v25
	v_lshrrev_b32_e32 v24, v15, v20
	v_lshl_or_b32 v18, v17, 12, v14
	v_lshl_or_b32 v2, v13, 16, v2
	s_delay_alu instid0(VALU_DEP_4) | instskip(NEXT) | instid1(VALU_DEP_4)
	v_cndmask_b32_e64 v19, v19, v12, s0
	v_lshlrev_b32_e32 v15, v15, v24
	s_delay_alu instid0(VALU_DEP_2) | instskip(NEXT) | instid1(VALU_DEP_2)
	v_and_b32_e32 v21, 7, v19
	v_cmp_ne_u32_e64 s1, v15, v20
	s_delay_alu instid0(VALU_DEP_2) | instskip(NEXT) | instid1(VALU_DEP_2)
	v_cmp_lt_i32_e64 s0, 5, v21
	v_cndmask_b32_e64 v15, 0, 1, s1
	v_cmp_eq_u32_e64 s1, 3, v21
	v_and_or_b32 v5, 0x1ff, v6, v5
	v_bfe_u32 v20, v6, 20, 11
	s_delay_alu instid0(VALU_DEP_4) | instskip(NEXT) | instid1(VALU_DEP_4)
	v_or_b32_e32 v15, v24, v15
	s_or_b32 s0, s1, s0
	s_delay_alu instid0(VALU_DEP_3) | instskip(SKIP_1) | instid1(VALU_DEP_2)
	v_cmp_ne_u32_e64 s2, 0, v5
	v_and_or_b32 v9, 0x1ff, v10, v9
	v_cndmask_b32_e64 v5, 0, 1, s2
	v_cmp_eq_u32_e64 s2, 0x40f, v16
	s_waitcnt vmcnt(0)
	v_mul_f16_e32 v12, v29, v22
	s_delay_alu instid0(VALU_DEP_1) | instskip(SKIP_1) | instid1(VALU_DEP_2)
	v_fmac_f16_e32 v12, v27, v4
	v_mul_f16_e32 v4, v29, v4
	v_cvt_f32_f16_e32 v7, v12
	s_delay_alu instid0(VALU_DEP_2) | instskip(NEXT) | instid1(VALU_DEP_2)
	v_fma_f16 v4, v27, v22, -v4
	v_cvt_f64_f32_e32 v[12:13], v7
	v_lshrrev_b32_e32 v7, 2, v19
	v_lshrrev_b32_e32 v19, 8, v6
	s_delay_alu instid0(VALU_DEP_2) | instskip(SKIP_1) | instid1(VALU_DEP_3)
	v_add_co_ci_u32_e64 v7, s0, 0, v7, s0
	v_cmp_gt_i32_e64 s0, 1, v17
	v_and_or_b32 v5, 0xffe, v19, v5
	s_delay_alu instid0(VALU_DEP_2) | instskip(SKIP_2) | instid1(VALU_DEP_4)
	v_cndmask_b32_e64 v15, v18, v15, s0
	v_cmp_ne_u32_e64 s0, 0, v25
	v_sub_nc_u32_e32 v18, 0x3f1, v20
	v_or_b32_e32 v23, 0x1000, v5
	scratch_load_b32 v25, off, off offset:12 ; 4-byte Folded Reload
	v_and_b32_e32 v21, 7, v15
	v_cndmask_b32_e64 v19, 0, 1, s0
	v_cmp_gt_i32_e64 s0, 31, v16
	v_med3_i32 v18, v18, 0, 13
	v_lshrrev_b32_e32 v15, 2, v15
	v_cmp_eq_u32_e64 s1, 3, v21
	v_lshl_or_b32 v19, v19, 9, 0x7c00
	v_cndmask_b32_e64 v7, 0x7c00, v7, s0
	v_cmp_lt_i32_e64 s0, 5, v21
	v_lshrrev_b32_e32 v24, v18, v23
	v_lshrrev_b32_e32 v21, 16, v8
	s_delay_alu instid0(VALU_DEP_4) | instskip(NEXT) | instid1(VALU_DEP_4)
	v_cndmask_b32_e64 v7, v7, v19, s2
	s_or_b32 s0, s1, s0
	s_delay_alu instid0(VALU_DEP_3)
	v_lshlrev_b32_e32 v16, v18, v24
	v_add_co_ci_u32_e64 v15, s0, 0, v15, s0
	v_cmp_ne_u32_e64 s0, 0, v14
	v_add_nc_u32_e32 v18, 0xfffffc10, v20
	v_and_or_b32 v20, 0x8000, v3, v7
	v_mul_f64 v[12:13], v[12:13], s[10:11]
	v_cvt_f32_f16_e32 v3, v4
	v_cndmask_b32_e64 v14, 0, 1, s0
	v_cmp_ne_u32_e64 s0, v16, v23
	v_lshl_or_b32 v19, v18, 12, v5
	v_and_b32_e32 v20, 0xffff, v20
	v_cvt_f64_f32_e32 v[3:4], v3
	v_lshl_or_b32 v14, v14, 9, 0x7c00
	v_cndmask_b32_e64 v16, 0, 1, s0
	v_cmp_gt_i32_e64 s0, 31, v17
	s_delay_alu instid0(VALU_DEP_2) | instskip(SKIP_3) | instid1(VALU_DEP_1)
	v_or_b32_e32 v16, v24, v16
	scratch_load_b32 v24, off, off offset:8 ; 4-byte Folded Reload
	v_cndmask_b32_e64 v15, 0x7c00, v15, s0
	v_cmp_gt_i32_e64 s0, 1, v18
	v_cndmask_b32_e64 v7, v19, v16, s0
	v_cmp_ne_u32_e64 s0, 0, v9
	v_lshrrev_b32_e32 v16, 8, v10
	v_bfe_u32 v19, v10, 20, 11
	v_lshrrev_b32_e32 v10, 16, v10
	s_delay_alu instid0(VALU_DEP_4) | instskip(SKIP_1) | instid1(VALU_DEP_2)
	v_cndmask_b32_e64 v9, 0, 1, s0
	v_cmp_eq_u32_e64 s0, 0x40f, v17
	v_and_or_b32 v9, 0xffe, v16, v9
	s_delay_alu instid0(VALU_DEP_2)
	v_cndmask_b32_e64 v14, v15, v14, s0
	v_and_b32_e32 v15, 7, v7
	v_sub_nc_u32_e32 v16, 0x3f1, v19
	v_lshrrev_b32_e32 v7, 2, v7
	v_or_b32_e32 v22, 0x1000, v9
	v_and_or_b32 v23, 0x8000, v11, v14
	v_cmp_lt_i32_e64 s0, 5, v15
	v_cmp_eq_u32_e64 s1, 3, v15
	v_med3_i32 v16, v16, 0, 13
	v_and_or_b32 v15, 0x1ff, v13, v12
	v_add_nc_u32_e32 v19, 0xfffffc10, v19
	v_mul_f64 v[3:4], v[3:4], s[10:11]
	s_or_b32 s0, s1, s0
	v_lshrrev_b32_e32 v14, v16, v22
	v_lshl_or_b32 v20, v23, 16, v20
	s_delay_alu instid0(VALU_DEP_3) | instskip(SKIP_4) | instid1(VALU_DEP_1)
	v_and_or_b32 v3, 0x1ff, v4, v3
	v_bfe_u32 v23, v4, 20, 11
	s_waitcnt vmcnt(1)
	v_mul_f16_e32 v17, v25, v21
	s_waitcnt vmcnt(0)
	v_fmac_f16_e32 v17, v24, v8
	v_mul_f16_e32 v8, v25, v8
	s_delay_alu instid0(VALU_DEP_2) | instskip(SKIP_3) | instid1(VALU_DEP_4)
	v_cvt_f32_f16_e32 v11, v17
	v_add_co_ci_u32_e64 v17, s0, 0, v7, s0
	v_cmp_ne_u32_e64 s0, 0, v5
	v_lshlrev_b32_e32 v7, v16, v14
	v_cvt_f64_f32_e32 v[11:12], v11
	v_fma_f16 v8, v24, v21, -v8
	v_lshrrev_b32_e32 v16, 8, v13
	v_cndmask_b32_e64 v5, 0, 1, s0
	v_cmp_ne_u32_e64 s0, 0, v15
	v_bfe_u32 v21, v13, 20, 11
	v_cvt_f32_f16_e32 v8, v8
	v_lshrrev_b32_e32 v13, 16, v13
	v_lshl_or_b32 v5, v5, 9, 0x7c00
	v_cndmask_b32_e64 v15, 0, 1, s0
	v_cmp_ne_u32_e64 s0, v7, v22
	v_lshl_or_b32 v22, v19, 12, v9
	s_delay_alu instid0(VALU_DEP_3) | instskip(NEXT) | instid1(VALU_DEP_3)
	v_and_or_b32 v16, 0xffe, v16, v15
	v_cndmask_b32_e64 v7, 0, 1, s0
	v_cmp_gt_i32_e64 s0, 31, v18
	v_sub_nc_u32_e32 v15, 0x3f1, v21
	s_delay_alu instid0(VALU_DEP_4) | instskip(NEXT) | instid1(VALU_DEP_4)
	v_or_b32_e32 v24, 0x1000, v16
	v_or_b32_e32 v14, v14, v7
	v_cvt_f64_f32_e32 v[7:8], v8
	v_cndmask_b32_e64 v17, 0x7c00, v17, s0
	v_cmp_gt_i32_e64 s0, 1, v19
	v_med3_i32 v25, v15, 0, 13
	s_delay_alu instid0(VALU_DEP_2) | instskip(SKIP_1) | instid1(VALU_DEP_1)
	v_cndmask_b32_e64 v22, v22, v14, s0
	v_add_co_u32 v14, s0, v0, s14
	v_add_co_ci_u32_e64 v15, s0, s15, v1, s0
	s_delay_alu instid0(VALU_DEP_3) | instskip(SKIP_3) | instid1(VALU_DEP_4)
	v_and_b32_e32 v0, 7, v22
	v_cmp_eq_u32_e64 s0, 0x40f, v18
	v_lshrrev_b32_e32 v26, v25, v24
	v_lshrrev_b32_e32 v18, 16, v6
	v_cmp_eq_u32_e64 s1, 3, v0
	s_delay_alu instid0(VALU_DEP_4)
	v_cndmask_b32_e64 v17, v17, v5, s0
	v_cmp_lt_i32_e64 s0, 5, v0
	v_lshrrev_b32_e32 v5, 2, v22
	v_lshlrev_b32_e32 v25, v25, v26
	v_mul_f64 v[0:1], v[11:12], s[10:11]
	v_add_nc_u32_e32 v11, 0xfffffc10, v21
	s_or_b32 s0, s1, s0
	v_and_or_b32 v17, 0x8000, v18, v17
	v_add_co_ci_u32_e64 v5, s0, 0, v5, s0
	v_cmp_ne_u32_e64 s2, v25, v24
	v_cmp_ne_u32_e64 s0, 0, v9
	v_lshl_or_b32 v21, v11, 12, v16
	v_and_b32_e32 v17, 0xffff, v17
	s_delay_alu instid0(VALU_DEP_4) | instskip(NEXT) | instid1(VALU_DEP_4)
	v_cndmask_b32_e64 v6, 0, 1, s2
	v_cndmask_b32_e64 v9, 0, 1, s0
	v_cmp_gt_i32_e64 s0, 31, v19
	s_delay_alu instid0(VALU_DEP_3) | instskip(NEXT) | instid1(VALU_DEP_3)
	v_or_b32_e32 v12, v26, v6
	v_lshl_or_b32 v9, v9, 9, 0x7c00
	s_delay_alu instid0(VALU_DEP_3) | instskip(SKIP_2) | instid1(VALU_DEP_1)
	v_cndmask_b32_e64 v22, 0x7c00, v5, s0
	v_mul_f64 v[5:6], v[7:8], s[10:11]
	v_add_co_u32 v7, s0, v14, s14
	v_add_co_ci_u32_e64 v8, s0, s15, v15, s0
	v_cmp_gt_i32_e64 s0, 1, v11
	s_delay_alu instid0(VALU_DEP_1) | instskip(SKIP_3) | instid1(VALU_DEP_3)
	v_cndmask_b32_e64 v12, v21, v12, s0
	v_cmp_ne_u32_e64 s0, 0, v3
	v_lshrrev_b32_e32 v21, 8, v4
	v_lshrrev_b32_e32 v4, 16, v4
	v_cndmask_b32_e64 v3, 0, 1, s0
	v_cmp_eq_u32_e64 s0, 0x40f, v19
	v_and_b32_e32 v19, 7, v12
	v_lshrrev_b32_e32 v12, 2, v12
	v_and_or_b32 v0, 0x1ff, v1, v0
	v_and_or_b32 v3, 0xffe, v21, v3
	v_cndmask_b32_e64 v9, v22, v9, s0
	v_sub_nc_u32_e32 v21, 0x3f1, v23
	v_cmp_lt_i32_e64 s0, 5, v19
	v_cmp_eq_u32_e64 s1, 3, v19
	v_bfe_u32 v22, v1, 20, 11
	v_and_or_b32 v9, 0x8000, v10, v9
	v_or_b32_e32 v10, 0x1000, v3
	v_med3_i32 v18, v21, 0, 13
	s_or_b32 s0, s1, s0
	v_lshrrev_b32_e32 v21, 8, v1
	v_add_co_ci_u32_e64 v12, s0, 0, v12, s0
	s_delay_alu instid0(VALU_DEP_3)
	v_lshrrev_b32_e32 v19, v18, v10
	v_cmp_ne_u32_e64 s0, 0, v0
	v_lshrrev_b32_e32 v1, 16, v1
	v_lshl_or_b32 v9, v9, 16, v17
	v_and_or_b32 v5, 0x1ff, v6, v5
	v_lshlrev_b32_e32 v18, v18, v19
	v_cndmask_b32_e64 v0, 0, 1, s0
	v_cmp_ne_u32_e64 s0, 0, v16
	v_lshrrev_b32_e32 v24, 8, v6
	v_bfe_u32 v25, v6, 20, 11
	s_delay_alu instid0(VALU_DEP_4) | instskip(NEXT) | instid1(VALU_DEP_4)
	v_and_or_b32 v0, 0xffe, v21, v0
	v_cndmask_b32_e64 v16, 0, 1, s0
	v_cmp_ne_u32_e64 s0, v18, v10
	v_sub_nc_u32_e32 v21, 0x3f1, v22
	v_add_nc_u32_e32 v18, 0xfffffc10, v23
	v_or_b32_e32 v23, 0x1000, v0
	v_lshl_or_b32 v16, v16, 9, 0x7c00
	v_cndmask_b32_e64 v10, 0, 1, s0
	v_cmp_gt_i32_e64 s0, 31, v11
	v_med3_i32 v21, v21, 0, 13
	s_delay_alu instid0(VALU_DEP_3) | instskip(NEXT) | instid1(VALU_DEP_3)
	v_or_b32_e32 v10, v19, v10
	v_cndmask_b32_e64 v12, 0x7c00, v12, s0
	v_cmp_ne_u32_e64 s0, 0, v5
	v_lshl_or_b32 v19, v18, 12, v3
	v_lshrrev_b32_e32 v26, v21, v23
	s_delay_alu instid0(VALU_DEP_3) | instskip(SKIP_1) | instid1(VALU_DEP_2)
	v_cndmask_b32_e64 v5, 0, 1, s0
	v_cmp_gt_i32_e64 s0, 1, v18
	v_and_or_b32 v5, 0xffe, v24, v5
	v_sub_nc_u32_e32 v24, 0x3f1, v25
	s_delay_alu instid0(VALU_DEP_3)
	v_cndmask_b32_e64 v10, v19, v10, s0
	v_lshlrev_b32_e32 v19, v21, v26
	v_cmp_eq_u32_e64 s0, 0x40f, v11
	v_or_b32_e32 v21, 0x1000, v5
	v_med3_i32 v24, v24, 0, 13
	v_and_b32_e32 v27, 7, v10
	v_lshrrev_b32_e32 v10, 2, v10
	v_cndmask_b32_e64 v11, v12, v16, s0
	v_cmp_ne_u32_e64 s0, v19, v23
	v_add_nc_u32_e32 v16, 0xfffffc10, v22
	v_lshrrev_b32_e32 v19, v24, v21
	v_cmp_eq_u32_e64 s1, 3, v27
	v_and_or_b32 v11, 0x8000, v13, v11
	v_cndmask_b32_e64 v12, 0, 1, s0
	v_lshl_or_b32 v22, v16, 12, v0
	v_lshlrev_b32_e32 v23, v24, v19
	v_cmp_gt_i32_e64 s2, 1, v16
	v_cmp_lt_i32_e64 s0, 5, v27
	v_or_b32_e32 v12, v26, v12
	v_and_b32_e32 v11, 0xffff, v11
	s_delay_alu instid0(VALU_DEP_3) | instskip(NEXT) | instid1(VALU_DEP_2)
	s_or_b32 s0, s1, s0
	v_cndmask_b32_e64 v12, v22, v12, s2
	v_cmp_ne_u32_e64 s2, v23, v21
	v_add_nc_u32_e32 v22, 0xfffffc10, v25
	v_add_co_ci_u32_e64 v10, s0, 0, v10, s0
	s_delay_alu instid0(VALU_DEP_4) | instskip(NEXT) | instid1(VALU_DEP_4)
	v_and_b32_e32 v23, 7, v12
	v_cndmask_b32_e64 v21, 0, 1, s2
	v_cmp_ne_u32_e64 s0, 0, v3
	v_cmp_gt_i32_e64 s1, 1, v22
	v_lshrrev_b32_e32 v12, 2, v12
	v_cmp_gt_i32_e64 s2, 31, v18
	v_or_b32_e32 v19, v19, v21
	v_lshl_or_b32 v21, v22, 12, v5
	v_cndmask_b32_e64 v3, 0, 1, s0
	v_cmp_lt_i32_e64 s0, 5, v23
	v_cndmask_b32_e64 v10, 0x7c00, v10, s2
	v_cmp_eq_u32_e64 s2, 0x40f, v18
	v_cndmask_b32_e64 v13, v21, v19, s1
	v_cmp_eq_u32_e64 s1, 3, v23
	v_lshl_or_b32 v3, v3, 9, 0x7c00
	s_delay_alu instid0(VALU_DEP_3) | instskip(NEXT) | instid1(VALU_DEP_3)
	v_and_b32_e32 v19, 7, v13
	s_or_b32 s0, s1, s0
	s_delay_alu instid0(VALU_DEP_2)
	v_cndmask_b32_e64 v3, v10, v3, s2
	v_add_co_ci_u32_e64 v12, s0, 0, v12, s0
	v_cmp_ne_u32_e64 s0, 0, v0
	v_cmp_eq_u32_e64 s1, 3, v19
	v_lshrrev_b32_e32 v10, 2, v13
	v_cmp_gt_i32_e64 s2, 31, v16
	s_delay_alu instid0(VALU_DEP_4) | instskip(SKIP_1) | instid1(VALU_DEP_3)
	v_cndmask_b32_e64 v0, 0, 1, s0
	v_cmp_lt_i32_e64 s0, 5, v19
	v_cndmask_b32_e64 v12, 0x7c00, v12, s2
	s_delay_alu instid0(VALU_DEP_3) | instskip(NEXT) | instid1(VALU_DEP_3)
	v_lshl_or_b32 v0, v0, 9, 0x7c00
	s_or_b32 s0, s1, s0
	s_delay_alu instid0(SALU_CYCLE_1) | instskip(SKIP_1) | instid1(VALU_DEP_1)
	v_add_co_ci_u32_e64 v10, s0, 0, v10, s0
	v_cmp_ne_u32_e64 s0, 0, v5
	v_cndmask_b32_e64 v5, 0, 1, s0
	v_cmp_eq_u32_e64 s0, 0x40f, v16
	s_delay_alu instid0(VALU_DEP_2) | instskip(NEXT) | instid1(VALU_DEP_2)
	v_lshl_or_b32 v5, v5, 9, 0x7c00
	v_cndmask_b32_e64 v0, v12, v0, s0
	v_cmp_gt_i32_e64 s0, 31, v22
	v_and_or_b32 v12, 0x8000, v4, v3
	s_delay_alu instid0(VALU_DEP_3) | instskip(NEXT) | instid1(VALU_DEP_3)
	v_and_or_b32 v0, 0x8000, v1, v0
	v_cndmask_b32_e64 v10, 0x7c00, v10, s0
	v_cmp_eq_u32_e64 s0, 0x40f, v22
	s_delay_alu instid0(VALU_DEP_3) | instskip(NEXT) | instid1(VALU_DEP_2)
	v_and_b32_e32 v0, 0xffff, v0
	v_cndmask_b32_e64 v1, v10, v5, s0
	v_lshrrev_b32_e32 v5, 16, v6
	v_add_co_u32 v3, s0, v7, s14
	s_delay_alu instid0(VALU_DEP_1) | instskip(NEXT) | instid1(VALU_DEP_3)
	v_add_co_ci_u32_e64 v4, s0, s15, v8, s0
	v_and_or_b32 v1, 0x8000, v5, v1
	s_delay_alu instid0(VALU_DEP_3) | instskip(NEXT) | instid1(VALU_DEP_1)
	v_add_co_u32 v5, s0, v3, s14
	v_add_co_ci_u32_e64 v6, s0, s15, v4, s0
	v_lshl_or_b32 v10, v12, 16, v11
	s_delay_alu instid0(VALU_DEP_4) | instskip(NEXT) | instid1(VALU_DEP_4)
	v_lshl_or_b32 v11, v1, 16, v0
	v_add_co_u32 v0, s0, v5, s14
	s_delay_alu instid0(VALU_DEP_1)
	v_add_co_ci_u32_e64 v1, s0, s15, v6, s0
	global_store_b32 v[14:15], v2, off
	global_store_b32 v[7:8], v20, off
	;; [unrolled: 1-line block ×5, first 2 shown]
	s_and_b32 exec_lo, exec_lo, vcc_lo
	s_cbranch_execz .LBB0_15
; %bb.14:
	global_load_b32 v4, v[72:73], off offset:720
	v_add_nc_u32_e32 v2, 0x280, v115
	ds_load_2addr_b32 v[2:3], v2 offset0:20 offset1:236
	s_waitcnt lgkmcnt(0)
	v_lshrrev_b32_e32 v5, 16, v2
	s_waitcnt vmcnt(0)
	v_lshrrev_b32_e32 v6, 16, v4
	s_delay_alu instid0(VALU_DEP_1) | instskip(SKIP_1) | instid1(VALU_DEP_2)
	v_mul_f16_e32 v7, v5, v6
	v_mul_f16_e32 v6, v2, v6
	v_fmac_f16_e32 v7, v2, v4
	s_delay_alu instid0(VALU_DEP_2) | instskip(NEXT) | instid1(VALU_DEP_2)
	v_fma_f16 v2, v4, v5, -v6
	v_cvt_f32_f16_e32 v4, v7
	s_delay_alu instid0(VALU_DEP_2) | instskip(NEXT) | instid1(VALU_DEP_2)
	v_cvt_f32_f16_e32 v2, v2
	v_cvt_f64_f32_e32 v[4:5], v4
	s_delay_alu instid0(VALU_DEP_2) | instskip(NEXT) | instid1(VALU_DEP_2)
	v_cvt_f64_f32_e32 v[6:7], v2
	v_mul_f64 v[4:5], v[4:5], s[10:11]
	s_delay_alu instid0(VALU_DEP_2) | instskip(NEXT) | instid1(VALU_DEP_2)
	v_mul_f64 v[6:7], v[6:7], s[10:11]
	v_and_or_b32 v2, 0x1ff, v5, v4
	s_delay_alu instid0(VALU_DEP_2)
	v_and_or_b32 v6, 0x1ff, v7, v6
	v_lshrrev_b32_e32 v4, 8, v5
	v_bfe_u32 v8, v5, 20, 11
	v_lshrrev_b32_e32 v9, 8, v7
	v_cmp_ne_u32_e32 vcc_lo, 0, v2
	v_bfe_u32 v10, v7, 20, 11
	v_lshrrev_b32_e32 v5, 16, v5
	v_sub_nc_u32_e32 v11, 0x3f1, v8
	v_add_nc_u32_e32 v8, 0xfffffc10, v8
	v_cndmask_b32_e64 v2, 0, 1, vcc_lo
	v_cmp_ne_u32_e32 vcc_lo, 0, v6
	v_lshrrev_b32_e32 v7, 16, v7
	s_delay_alu instid0(VALU_DEP_3) | instskip(SKIP_3) | instid1(VALU_DEP_3)
	v_and_or_b32 v2, 0xffe, v4, v2
	v_cndmask_b32_e64 v6, 0, 1, vcc_lo
	v_sub_nc_u32_e32 v4, 0x3f1, v10
	v_add_nc_u32_e32 v10, 0xfffffc10, v10
	v_and_or_b32 v6, 0xffe, v9, v6
	v_med3_i32 v9, v11, 0, 13
	v_or_b32_e32 v11, 0x1000, v2
	v_med3_i32 v4, v4, 0, 13
	s_delay_alu instid0(VALU_DEP_4) | instskip(NEXT) | instid1(VALU_DEP_3)
	v_or_b32_e32 v12, 0x1000, v6
	v_lshrrev_b32_e32 v13, v9, v11
	s_delay_alu instid0(VALU_DEP_2) | instskip(NEXT) | instid1(VALU_DEP_2)
	v_lshrrev_b32_e32 v14, v4, v12
	v_lshlrev_b32_e32 v9, v9, v13
	s_delay_alu instid0(VALU_DEP_2) | instskip(NEXT) | instid1(VALU_DEP_2)
	v_lshlrev_b32_e32 v4, v4, v14
	v_cmp_ne_u32_e32 vcc_lo, v9, v11
	v_lshl_or_b32 v11, v8, 12, v2
	v_cndmask_b32_e64 v9, 0, 1, vcc_lo
	s_delay_alu instid0(VALU_DEP_4) | instskip(SKIP_1) | instid1(VALU_DEP_3)
	v_cmp_ne_u32_e32 vcc_lo, v4, v12
	v_lshl_or_b32 v12, v10, 12, v6
	v_or_b32_e32 v9, v13, v9
	v_cndmask_b32_e64 v4, 0, 1, vcc_lo
	v_cmp_gt_i32_e32 vcc_lo, 1, v8
	s_delay_alu instid0(VALU_DEP_2) | instskip(NEXT) | instid1(VALU_DEP_4)
	v_or_b32_e32 v4, v14, v4
	v_cndmask_b32_e32 v9, v11, v9, vcc_lo
	v_cmp_gt_i32_e32 vcc_lo, 1, v10
	s_delay_alu instid0(VALU_DEP_2) | instskip(SKIP_2) | instid1(VALU_DEP_3)
	v_dual_cndmask_b32 v4, v12, v4 :: v_dual_and_b32 v11, 7, v9
	v_cmp_ne_u32_e32 vcc_lo, 0, v2
	v_lshrrev_b32_e32 v9, 2, v9
	v_cmp_eq_u32_e64 s0, 3, v11
	s_delay_alu instid0(VALU_DEP_4) | instskip(SKIP_3) | instid1(VALU_DEP_4)
	v_and_b32_e32 v12, 7, v4
	v_cndmask_b32_e64 v2, 0, 1, vcc_lo
	v_cmp_ne_u32_e32 vcc_lo, 0, v6
	v_lshrrev_b32_e32 v4, 2, v4
	v_cmp_lt_i32_e64 s1, 5, v12
	v_cmp_eq_u32_e64 s2, 3, v12
	v_cndmask_b32_e64 v6, 0, 1, vcc_lo
	v_cmp_lt_i32_e32 vcc_lo, 5, v11
	v_lshl_or_b32 v2, v2, 9, 0x7c00
	s_delay_alu instid0(VALU_DEP_3)
	v_lshl_or_b32 v6, v6, 9, 0x7c00
	s_or_b32 vcc_lo, s0, vcc_lo
	v_add_co_ci_u32_e32 v9, vcc_lo, 0, v9, vcc_lo
	s_or_b32 vcc_lo, s2, s1
	v_add_co_ci_u32_e32 v4, vcc_lo, 0, v4, vcc_lo
	v_cmp_gt_i32_e32 vcc_lo, 31, v8
	s_delay_alu instid0(VALU_DEP_3) | instskip(SKIP_1) | instid1(VALU_DEP_4)
	v_cndmask_b32_e32 v9, 0x7c00, v9, vcc_lo
	v_cmp_gt_i32_e32 vcc_lo, 31, v10
	v_cndmask_b32_e32 v4, 0x7c00, v4, vcc_lo
	v_cmp_eq_u32_e32 vcc_lo, 0x40f, v8
	s_delay_alu instid0(VALU_DEP_4) | instskip(SKIP_1) | instid1(VALU_DEP_2)
	v_cndmask_b32_e32 v2, v9, v2, vcc_lo
	v_cmp_eq_u32_e32 vcc_lo, 0x40f, v10
	v_and_or_b32 v2, 0x8000, v5, v2
	v_cndmask_b32_e32 v4, v4, v6, vcc_lo
	v_add_co_u32 v0, vcc_lo, v0, s16
	v_add_co_ci_u32_e32 v1, vcc_lo, s17, v1, vcc_lo
	s_delay_alu instid0(VALU_DEP_3) | instskip(SKIP_1) | instid1(VALU_DEP_1)
	v_and_or_b32 v4, 0x8000, v7, v4
	v_and_b32_e32 v2, 0xffff, v2
	v_lshl_or_b32 v2, v4, 16, v2
	v_lshrrev_b32_e32 v4, 16, v3
	global_store_b32 v[0:1], v2, off
	global_load_b32 v2, v[72:73], off offset:1584
	s_waitcnt vmcnt(0)
	v_lshrrev_b32_e32 v5, 16, v2
	s_delay_alu instid0(VALU_DEP_1) | instskip(SKIP_1) | instid1(VALU_DEP_2)
	v_mul_f16_e32 v6, v4, v5
	v_mul_f16_e32 v5, v3, v5
	v_fmac_f16_e32 v6, v3, v2
	s_delay_alu instid0(VALU_DEP_2) | instskip(NEXT) | instid1(VALU_DEP_2)
	v_fma_f16 v2, v2, v4, -v5
	v_cvt_f32_f16_e32 v3, v6
	s_delay_alu instid0(VALU_DEP_2) | instskip(NEXT) | instid1(VALU_DEP_2)
	v_cvt_f32_f16_e32 v4, v2
	v_cvt_f64_f32_e32 v[2:3], v3
	s_delay_alu instid0(VALU_DEP_2) | instskip(NEXT) | instid1(VALU_DEP_2)
	v_cvt_f64_f32_e32 v[4:5], v4
	v_mul_f64 v[2:3], v[2:3], s[10:11]
	s_delay_alu instid0(VALU_DEP_2) | instskip(NEXT) | instid1(VALU_DEP_2)
	v_mul_f64 v[4:5], v[4:5], s[10:11]
	v_and_or_b32 v2, 0x1ff, v3, v2
	s_delay_alu instid0(VALU_DEP_2)
	v_and_or_b32 v4, 0x1ff, v5, v4
	v_lshrrev_b32_e32 v6, 8, v3
	v_bfe_u32 v7, v3, 20, 11
	v_lshrrev_b32_e32 v8, 8, v5
	v_cmp_ne_u32_e32 vcc_lo, 0, v2
	v_bfe_u32 v9, v5, 20, 11
	v_lshrrev_b32_e32 v3, 16, v3
	v_sub_nc_u32_e32 v10, 0x3f1, v7
	v_add_nc_u32_e32 v7, 0xfffffc10, v7
	v_cndmask_b32_e64 v2, 0, 1, vcc_lo
	v_cmp_ne_u32_e32 vcc_lo, 0, v4
	v_lshrrev_b32_e32 v5, 16, v5
	s_delay_alu instid0(VALU_DEP_3) | instskip(SKIP_3) | instid1(VALU_DEP_3)
	v_and_or_b32 v2, 0xffe, v6, v2
	v_cndmask_b32_e64 v4, 0, 1, vcc_lo
	v_sub_nc_u32_e32 v6, 0x3f1, v9
	v_add_nc_u32_e32 v9, 0xfffffc10, v9
	v_and_or_b32 v4, 0xffe, v8, v4
	v_med3_i32 v8, v10, 0, 13
	v_or_b32_e32 v10, 0x1000, v2
	v_med3_i32 v6, v6, 0, 13
	s_delay_alu instid0(VALU_DEP_4) | instskip(NEXT) | instid1(VALU_DEP_3)
	v_or_b32_e32 v11, 0x1000, v4
	v_lshrrev_b32_e32 v12, v8, v10
	s_delay_alu instid0(VALU_DEP_2) | instskip(NEXT) | instid1(VALU_DEP_2)
	v_lshrrev_b32_e32 v13, v6, v11
	v_lshlrev_b32_e32 v8, v8, v12
	s_delay_alu instid0(VALU_DEP_2) | instskip(NEXT) | instid1(VALU_DEP_2)
	v_lshlrev_b32_e32 v6, v6, v13
	v_cmp_ne_u32_e32 vcc_lo, v8, v10
	v_lshl_or_b32 v10, v7, 12, v2
	v_cndmask_b32_e64 v8, 0, 1, vcc_lo
	s_delay_alu instid0(VALU_DEP_4) | instskip(SKIP_1) | instid1(VALU_DEP_3)
	v_cmp_ne_u32_e32 vcc_lo, v6, v11
	v_lshl_or_b32 v11, v9, 12, v4
	v_or_b32_e32 v8, v12, v8
	v_cndmask_b32_e64 v6, 0, 1, vcc_lo
	v_cmp_gt_i32_e32 vcc_lo, 1, v7
	s_delay_alu instid0(VALU_DEP_2) | instskip(NEXT) | instid1(VALU_DEP_4)
	v_or_b32_e32 v6, v13, v6
	v_cndmask_b32_e32 v8, v10, v8, vcc_lo
	v_cmp_gt_i32_e32 vcc_lo, 1, v9
	s_delay_alu instid0(VALU_DEP_3) | instskip(SKIP_1) | instid1(VALU_DEP_2)
	v_cndmask_b32_e32 v6, v11, v6, vcc_lo
	v_cmp_ne_u32_e32 vcc_lo, 0, v2
	v_and_b32_e32 v11, 7, v6
	v_cndmask_b32_e64 v2, 0, 1, vcc_lo
	v_and_b32_e32 v10, 7, v8
	v_cmp_ne_u32_e32 vcc_lo, 0, v4
	v_lshrrev_b32_e32 v8, 2, v8
	v_cmp_lt_i32_e64 s1, 5, v11
	v_cmp_eq_u32_e64 s2, 3, v11
	v_cmp_eq_u32_e64 s0, 3, v10
	v_cndmask_b32_e64 v4, 0, 1, vcc_lo
	v_cmp_lt_i32_e32 vcc_lo, 5, v10
	v_lshrrev_b32_e32 v6, 2, v6
	v_lshl_or_b32 v2, v2, 9, 0x7c00
	s_delay_alu instid0(VALU_DEP_4)
	v_lshl_or_b32 v4, v4, 9, 0x7c00
	s_or_b32 vcc_lo, s0, vcc_lo
	v_add_co_ci_u32_e32 v8, vcc_lo, 0, v8, vcc_lo
	s_or_b32 vcc_lo, s2, s1
	v_add_co_ci_u32_e32 v6, vcc_lo, 0, v6, vcc_lo
	v_cmp_gt_i32_e32 vcc_lo, 31, v7
	s_delay_alu instid0(VALU_DEP_3) | instskip(SKIP_1) | instid1(VALU_DEP_4)
	v_cndmask_b32_e32 v8, 0x7c00, v8, vcc_lo
	v_cmp_gt_i32_e32 vcc_lo, 31, v9
	v_cndmask_b32_e32 v6, 0x7c00, v6, vcc_lo
	v_cmp_eq_u32_e32 vcc_lo, 0x40f, v7
	s_delay_alu instid0(VALU_DEP_4) | instskip(SKIP_1) | instid1(VALU_DEP_2)
	v_cndmask_b32_e32 v2, v8, v2, vcc_lo
	v_cmp_eq_u32_e32 vcc_lo, 0x40f, v9
	v_and_or_b32 v2, 0x8000, v3, v2
	v_cndmask_b32_e32 v4, v6, v4, vcc_lo
	v_add_co_u32 v0, vcc_lo, v0, s14
	v_add_co_ci_u32_e32 v1, vcc_lo, s15, v1, vcc_lo
	s_delay_alu instid0(VALU_DEP_3) | instskip(SKIP_1) | instid1(VALU_DEP_1)
	v_and_or_b32 v3, 0x8000, v5, v4
	v_and_b32_e32 v2, 0xffff, v2
	v_lshl_or_b32 v2, v3, 16, v2
	global_store_b32 v[0:1], v2, off
	global_load_b32 v4, v[72:73], off offset:2448
	v_add_nc_u32_e32 v2, 0x900, v115
	ds_load_2addr_b32 v[2:3], v2 offset0:36 offset1:252
	s_waitcnt lgkmcnt(0)
	v_lshrrev_b32_e32 v5, 16, v2
	s_waitcnt vmcnt(0)
	v_lshrrev_b32_e32 v6, 16, v4
	s_delay_alu instid0(VALU_DEP_1) | instskip(SKIP_1) | instid1(VALU_DEP_2)
	v_mul_f16_e32 v7, v5, v6
	v_mul_f16_e32 v6, v2, v6
	v_fmac_f16_e32 v7, v2, v4
	s_delay_alu instid0(VALU_DEP_2) | instskip(NEXT) | instid1(VALU_DEP_2)
	v_fma_f16 v2, v4, v5, -v6
	v_cvt_f32_f16_e32 v4, v7
	s_delay_alu instid0(VALU_DEP_2) | instskip(NEXT) | instid1(VALU_DEP_2)
	v_cvt_f32_f16_e32 v2, v2
	v_cvt_f64_f32_e32 v[4:5], v4
	s_delay_alu instid0(VALU_DEP_2) | instskip(NEXT) | instid1(VALU_DEP_2)
	v_cvt_f64_f32_e32 v[6:7], v2
	v_mul_f64 v[4:5], v[4:5], s[10:11]
	s_delay_alu instid0(VALU_DEP_2) | instskip(NEXT) | instid1(VALU_DEP_2)
	v_mul_f64 v[6:7], v[6:7], s[10:11]
	v_and_or_b32 v2, 0x1ff, v5, v4
	s_delay_alu instid0(VALU_DEP_2)
	v_and_or_b32 v6, 0x1ff, v7, v6
	v_lshrrev_b32_e32 v4, 8, v5
	v_bfe_u32 v8, v5, 20, 11
	v_lshrrev_b32_e32 v9, 8, v7
	v_cmp_ne_u32_e32 vcc_lo, 0, v2
	v_bfe_u32 v10, v7, 20, 11
	v_lshrrev_b32_e32 v5, 16, v5
	v_sub_nc_u32_e32 v11, 0x3f1, v8
	v_add_nc_u32_e32 v8, 0xfffffc10, v8
	v_cndmask_b32_e64 v2, 0, 1, vcc_lo
	v_cmp_ne_u32_e32 vcc_lo, 0, v6
	v_lshrrev_b32_e32 v7, 16, v7
	s_delay_alu instid0(VALU_DEP_3) | instskip(SKIP_3) | instid1(VALU_DEP_3)
	v_and_or_b32 v2, 0xffe, v4, v2
	v_cndmask_b32_e64 v6, 0, 1, vcc_lo
	v_sub_nc_u32_e32 v4, 0x3f1, v10
	v_add_nc_u32_e32 v10, 0xfffffc10, v10
	v_and_or_b32 v6, 0xffe, v9, v6
	v_med3_i32 v9, v11, 0, 13
	v_or_b32_e32 v11, 0x1000, v2
	v_med3_i32 v4, v4, 0, 13
	s_delay_alu instid0(VALU_DEP_4) | instskip(NEXT) | instid1(VALU_DEP_3)
	v_or_b32_e32 v12, 0x1000, v6
	v_lshrrev_b32_e32 v13, v9, v11
	s_delay_alu instid0(VALU_DEP_2) | instskip(NEXT) | instid1(VALU_DEP_2)
	v_lshrrev_b32_e32 v14, v4, v12
	v_lshlrev_b32_e32 v9, v9, v13
	s_delay_alu instid0(VALU_DEP_2) | instskip(NEXT) | instid1(VALU_DEP_2)
	v_lshlrev_b32_e32 v4, v4, v14
	v_cmp_ne_u32_e32 vcc_lo, v9, v11
	v_lshl_or_b32 v11, v8, 12, v2
	v_cndmask_b32_e64 v9, 0, 1, vcc_lo
	s_delay_alu instid0(VALU_DEP_4) | instskip(SKIP_1) | instid1(VALU_DEP_3)
	v_cmp_ne_u32_e32 vcc_lo, v4, v12
	v_lshl_or_b32 v12, v10, 12, v6
	v_or_b32_e32 v9, v13, v9
	v_cndmask_b32_e64 v4, 0, 1, vcc_lo
	v_cmp_gt_i32_e32 vcc_lo, 1, v8
	s_delay_alu instid0(VALU_DEP_2) | instskip(NEXT) | instid1(VALU_DEP_4)
	v_or_b32_e32 v4, v14, v4
	v_cndmask_b32_e32 v9, v11, v9, vcc_lo
	v_cmp_gt_i32_e32 vcc_lo, 1, v10
	s_delay_alu instid0(VALU_DEP_2) | instskip(SKIP_2) | instid1(VALU_DEP_3)
	v_dual_cndmask_b32 v4, v12, v4 :: v_dual_and_b32 v11, 7, v9
	v_cmp_ne_u32_e32 vcc_lo, 0, v2
	v_lshrrev_b32_e32 v9, 2, v9
	v_cmp_eq_u32_e64 s0, 3, v11
	s_delay_alu instid0(VALU_DEP_4) | instskip(SKIP_3) | instid1(VALU_DEP_4)
	v_and_b32_e32 v12, 7, v4
	v_cndmask_b32_e64 v2, 0, 1, vcc_lo
	v_cmp_ne_u32_e32 vcc_lo, 0, v6
	v_lshrrev_b32_e32 v4, 2, v4
	v_cmp_lt_i32_e64 s1, 5, v12
	v_cmp_eq_u32_e64 s2, 3, v12
	v_cndmask_b32_e64 v6, 0, 1, vcc_lo
	v_cmp_lt_i32_e32 vcc_lo, 5, v11
	v_lshl_or_b32 v2, v2, 9, 0x7c00
	s_delay_alu instid0(VALU_DEP_3)
	v_lshl_or_b32 v6, v6, 9, 0x7c00
	s_or_b32 vcc_lo, s0, vcc_lo
	v_add_co_ci_u32_e32 v9, vcc_lo, 0, v9, vcc_lo
	s_or_b32 vcc_lo, s2, s1
	v_add_co_ci_u32_e32 v4, vcc_lo, 0, v4, vcc_lo
	v_cmp_gt_i32_e32 vcc_lo, 31, v8
	s_delay_alu instid0(VALU_DEP_3) | instskip(SKIP_1) | instid1(VALU_DEP_4)
	v_cndmask_b32_e32 v9, 0x7c00, v9, vcc_lo
	v_cmp_gt_i32_e32 vcc_lo, 31, v10
	v_cndmask_b32_e32 v4, 0x7c00, v4, vcc_lo
	v_cmp_eq_u32_e32 vcc_lo, 0x40f, v8
	s_delay_alu instid0(VALU_DEP_4) | instskip(SKIP_1) | instid1(VALU_DEP_2)
	v_cndmask_b32_e32 v2, v9, v2, vcc_lo
	v_cmp_eq_u32_e32 vcc_lo, 0x40f, v10
	v_and_or_b32 v2, 0x8000, v5, v2
	v_cndmask_b32_e32 v4, v4, v6, vcc_lo
	v_add_co_u32 v0, vcc_lo, v0, s14
	v_add_co_ci_u32_e32 v1, vcc_lo, s15, v1, vcc_lo
	s_delay_alu instid0(VALU_DEP_3) | instskip(SKIP_1) | instid1(VALU_DEP_1)
	v_and_or_b32 v4, 0x8000, v7, v4
	v_and_b32_e32 v2, 0xffff, v2
	v_lshl_or_b32 v2, v4, 16, v2
	v_lshrrev_b32_e32 v4, 16, v3
	global_store_b32 v[0:1], v2, off
	global_load_b32 v2, v[72:73], off offset:3312
	s_waitcnt vmcnt(0)
	v_lshrrev_b32_e32 v5, 16, v2
	s_delay_alu instid0(VALU_DEP_1) | instskip(SKIP_1) | instid1(VALU_DEP_2)
	v_mul_f16_e32 v6, v4, v5
	v_mul_f16_e32 v5, v3, v5
	v_fmac_f16_e32 v6, v3, v2
	s_delay_alu instid0(VALU_DEP_2) | instskip(NEXT) | instid1(VALU_DEP_2)
	v_fma_f16 v2, v2, v4, -v5
	v_cvt_f32_f16_e32 v3, v6
	s_delay_alu instid0(VALU_DEP_2) | instskip(NEXT) | instid1(VALU_DEP_2)
	v_cvt_f32_f16_e32 v4, v2
	v_cvt_f64_f32_e32 v[2:3], v3
	s_delay_alu instid0(VALU_DEP_2) | instskip(NEXT) | instid1(VALU_DEP_2)
	v_cvt_f64_f32_e32 v[4:5], v4
	v_mul_f64 v[2:3], v[2:3], s[10:11]
	s_delay_alu instid0(VALU_DEP_2) | instskip(NEXT) | instid1(VALU_DEP_2)
	v_mul_f64 v[4:5], v[4:5], s[10:11]
	v_and_or_b32 v2, 0x1ff, v3, v2
	s_delay_alu instid0(VALU_DEP_2)
	v_and_or_b32 v4, 0x1ff, v5, v4
	v_lshrrev_b32_e32 v6, 8, v3
	v_bfe_u32 v7, v3, 20, 11
	v_lshrrev_b32_e32 v8, 8, v5
	v_cmp_ne_u32_e32 vcc_lo, 0, v2
	v_bfe_u32 v9, v5, 20, 11
	v_lshrrev_b32_e32 v3, 16, v3
	v_sub_nc_u32_e32 v10, 0x3f1, v7
	v_add_nc_u32_e32 v7, 0xfffffc10, v7
	v_cndmask_b32_e64 v2, 0, 1, vcc_lo
	v_cmp_ne_u32_e32 vcc_lo, 0, v4
	v_lshrrev_b32_e32 v5, 16, v5
	s_delay_alu instid0(VALU_DEP_3) | instskip(SKIP_3) | instid1(VALU_DEP_3)
	v_and_or_b32 v2, 0xffe, v6, v2
	v_cndmask_b32_e64 v4, 0, 1, vcc_lo
	v_sub_nc_u32_e32 v6, 0x3f1, v9
	v_add_nc_u32_e32 v9, 0xfffffc10, v9
	v_and_or_b32 v4, 0xffe, v8, v4
	v_med3_i32 v8, v10, 0, 13
	v_or_b32_e32 v10, 0x1000, v2
	v_med3_i32 v6, v6, 0, 13
	s_delay_alu instid0(VALU_DEP_4) | instskip(NEXT) | instid1(VALU_DEP_3)
	v_or_b32_e32 v11, 0x1000, v4
	v_lshrrev_b32_e32 v12, v8, v10
	s_delay_alu instid0(VALU_DEP_2) | instskip(NEXT) | instid1(VALU_DEP_2)
	v_lshrrev_b32_e32 v13, v6, v11
	v_lshlrev_b32_e32 v8, v8, v12
	s_delay_alu instid0(VALU_DEP_2) | instskip(NEXT) | instid1(VALU_DEP_2)
	v_lshlrev_b32_e32 v6, v6, v13
	v_cmp_ne_u32_e32 vcc_lo, v8, v10
	v_lshl_or_b32 v10, v7, 12, v2
	v_cndmask_b32_e64 v8, 0, 1, vcc_lo
	s_delay_alu instid0(VALU_DEP_4) | instskip(SKIP_1) | instid1(VALU_DEP_3)
	v_cmp_ne_u32_e32 vcc_lo, v6, v11
	v_lshl_or_b32 v11, v9, 12, v4
	v_or_b32_e32 v8, v12, v8
	v_cndmask_b32_e64 v6, 0, 1, vcc_lo
	v_cmp_gt_i32_e32 vcc_lo, 1, v7
	s_delay_alu instid0(VALU_DEP_2) | instskip(NEXT) | instid1(VALU_DEP_4)
	v_or_b32_e32 v6, v13, v6
	v_cndmask_b32_e32 v8, v10, v8, vcc_lo
	v_cmp_gt_i32_e32 vcc_lo, 1, v9
	s_delay_alu instid0(VALU_DEP_2) | instskip(NEXT) | instid1(VALU_DEP_4)
	v_and_b32_e32 v10, 7, v8
	v_cndmask_b32_e32 v6, v11, v6, vcc_lo
	v_cmp_ne_u32_e32 vcc_lo, 0, v2
	v_lshrrev_b32_e32 v8, 2, v8
	s_delay_alu instid0(VALU_DEP_4) | instskip(NEXT) | instid1(VALU_DEP_4)
	v_cmp_eq_u32_e64 s0, 3, v10
	v_and_b32_e32 v11, 7, v6
	v_cndmask_b32_e64 v2, 0, 1, vcc_lo
	v_cmp_ne_u32_e32 vcc_lo, 0, v4
	v_lshrrev_b32_e32 v6, 2, v6
	s_delay_alu instid0(VALU_DEP_4) | instskip(SKIP_4) | instid1(VALU_DEP_3)
	v_cmp_lt_i32_e64 s1, 5, v11
	v_cmp_eq_u32_e64 s2, 3, v11
	v_cndmask_b32_e64 v4, 0, 1, vcc_lo
	v_cmp_lt_i32_e32 vcc_lo, 5, v10
	v_lshl_or_b32 v2, v2, 9, 0x7c00
	v_lshl_or_b32 v4, v4, 9, 0x7c00
	s_or_b32 vcc_lo, s0, vcc_lo
	v_add_co_ci_u32_e32 v8, vcc_lo, 0, v8, vcc_lo
	s_or_b32 vcc_lo, s2, s1
	v_add_co_ci_u32_e32 v6, vcc_lo, 0, v6, vcc_lo
	v_cmp_gt_i32_e32 vcc_lo, 31, v7
	s_delay_alu instid0(VALU_DEP_3) | instskip(SKIP_1) | instid1(VALU_DEP_4)
	v_cndmask_b32_e32 v8, 0x7c00, v8, vcc_lo
	v_cmp_gt_i32_e32 vcc_lo, 31, v9
	v_cndmask_b32_e32 v6, 0x7c00, v6, vcc_lo
	v_cmp_eq_u32_e32 vcc_lo, 0x40f, v7
	s_delay_alu instid0(VALU_DEP_4) | instskip(SKIP_1) | instid1(VALU_DEP_2)
	v_cndmask_b32_e32 v2, v8, v2, vcc_lo
	v_cmp_eq_u32_e32 vcc_lo, 0x40f, v9
	v_and_or_b32 v2, 0x8000, v3, v2
	v_cndmask_b32_e32 v4, v6, v4, vcc_lo
	v_add_co_u32 v0, vcc_lo, v0, s14
	v_add_co_ci_u32_e32 v1, vcc_lo, s15, v1, vcc_lo
	s_delay_alu instid0(VALU_DEP_3) | instskip(SKIP_1) | instid1(VALU_DEP_1)
	v_and_or_b32 v3, 0x8000, v5, v4
	v_and_b32_e32 v2, 0xffff, v2
	v_lshl_or_b32 v2, v3, 16, v2
	global_store_b32 v[0:1], v2, off
	global_load_b32 v4, v[68:69], off offset:80
	ds_load_2addr_b32 v[2:3], v75 offset0:20 offset1:236
	s_waitcnt lgkmcnt(0)
	v_lshrrev_b32_e32 v5, 16, v2
	s_waitcnt vmcnt(0)
	v_lshrrev_b32_e32 v6, 16, v4
	s_delay_alu instid0(VALU_DEP_1) | instskip(SKIP_1) | instid1(VALU_DEP_2)
	v_mul_f16_e32 v7, v5, v6
	v_mul_f16_e32 v6, v2, v6
	v_fmac_f16_e32 v7, v2, v4
	s_delay_alu instid0(VALU_DEP_2) | instskip(NEXT) | instid1(VALU_DEP_2)
	v_fma_f16 v2, v4, v5, -v6
	v_cvt_f32_f16_e32 v4, v7
	s_delay_alu instid0(VALU_DEP_2) | instskip(NEXT) | instid1(VALU_DEP_2)
	v_cvt_f32_f16_e32 v2, v2
	v_cvt_f64_f32_e32 v[4:5], v4
	s_delay_alu instid0(VALU_DEP_2) | instskip(NEXT) | instid1(VALU_DEP_2)
	v_cvt_f64_f32_e32 v[6:7], v2
	v_mul_f64 v[4:5], v[4:5], s[10:11]
	s_delay_alu instid0(VALU_DEP_2) | instskip(NEXT) | instid1(VALU_DEP_2)
	v_mul_f64 v[6:7], v[6:7], s[10:11]
	v_and_or_b32 v2, 0x1ff, v5, v4
	s_delay_alu instid0(VALU_DEP_2)
	v_and_or_b32 v6, 0x1ff, v7, v6
	v_lshrrev_b32_e32 v4, 8, v5
	v_bfe_u32 v8, v5, 20, 11
	v_lshrrev_b32_e32 v9, 8, v7
	v_cmp_ne_u32_e32 vcc_lo, 0, v2
	v_bfe_u32 v10, v7, 20, 11
	v_lshrrev_b32_e32 v5, 16, v5
	v_sub_nc_u32_e32 v11, 0x3f1, v8
	v_add_nc_u32_e32 v8, 0xfffffc10, v8
	v_cndmask_b32_e64 v2, 0, 1, vcc_lo
	v_cmp_ne_u32_e32 vcc_lo, 0, v6
	v_lshrrev_b32_e32 v7, 16, v7
	s_delay_alu instid0(VALU_DEP_3) | instskip(SKIP_3) | instid1(VALU_DEP_3)
	v_and_or_b32 v2, 0xffe, v4, v2
	v_cndmask_b32_e64 v6, 0, 1, vcc_lo
	v_sub_nc_u32_e32 v4, 0x3f1, v10
	v_add_nc_u32_e32 v10, 0xfffffc10, v10
	v_and_or_b32 v6, 0xffe, v9, v6
	v_med3_i32 v9, v11, 0, 13
	v_or_b32_e32 v11, 0x1000, v2
	v_med3_i32 v4, v4, 0, 13
	s_delay_alu instid0(VALU_DEP_4) | instskip(NEXT) | instid1(VALU_DEP_3)
	v_or_b32_e32 v12, 0x1000, v6
	v_lshrrev_b32_e32 v13, v9, v11
	s_delay_alu instid0(VALU_DEP_2) | instskip(NEXT) | instid1(VALU_DEP_2)
	v_lshrrev_b32_e32 v14, v4, v12
	v_lshlrev_b32_e32 v9, v9, v13
	s_delay_alu instid0(VALU_DEP_2) | instskip(NEXT) | instid1(VALU_DEP_2)
	v_lshlrev_b32_e32 v4, v4, v14
	v_cmp_ne_u32_e32 vcc_lo, v9, v11
	v_lshl_or_b32 v11, v8, 12, v2
	v_cndmask_b32_e64 v9, 0, 1, vcc_lo
	s_delay_alu instid0(VALU_DEP_4) | instskip(SKIP_1) | instid1(VALU_DEP_3)
	v_cmp_ne_u32_e32 vcc_lo, v4, v12
	v_lshl_or_b32 v12, v10, 12, v6
	v_or_b32_e32 v9, v13, v9
	v_cndmask_b32_e64 v4, 0, 1, vcc_lo
	v_cmp_gt_i32_e32 vcc_lo, 1, v8
	s_delay_alu instid0(VALU_DEP_2) | instskip(NEXT) | instid1(VALU_DEP_4)
	v_or_b32_e32 v4, v14, v4
	v_cndmask_b32_e32 v9, v11, v9, vcc_lo
	v_cmp_gt_i32_e32 vcc_lo, 1, v10
	s_delay_alu instid0(VALU_DEP_2) | instskip(SKIP_2) | instid1(VALU_DEP_3)
	v_dual_cndmask_b32 v4, v12, v4 :: v_dual_and_b32 v11, 7, v9
	v_cmp_ne_u32_e32 vcc_lo, 0, v2
	v_lshrrev_b32_e32 v9, 2, v9
	v_cmp_eq_u32_e64 s0, 3, v11
	s_delay_alu instid0(VALU_DEP_4) | instskip(SKIP_3) | instid1(VALU_DEP_4)
	v_and_b32_e32 v12, 7, v4
	v_cndmask_b32_e64 v2, 0, 1, vcc_lo
	v_cmp_ne_u32_e32 vcc_lo, 0, v6
	v_lshrrev_b32_e32 v4, 2, v4
	v_cmp_lt_i32_e64 s1, 5, v12
	v_cmp_eq_u32_e64 s2, 3, v12
	v_cndmask_b32_e64 v6, 0, 1, vcc_lo
	v_cmp_lt_i32_e32 vcc_lo, 5, v11
	v_lshl_or_b32 v2, v2, 9, 0x7c00
	s_delay_alu instid0(VALU_DEP_3)
	v_lshl_or_b32 v6, v6, 9, 0x7c00
	s_or_b32 vcc_lo, s0, vcc_lo
	v_add_co_ci_u32_e32 v9, vcc_lo, 0, v9, vcc_lo
	s_or_b32 vcc_lo, s2, s1
	v_add_co_ci_u32_e32 v4, vcc_lo, 0, v4, vcc_lo
	v_cmp_gt_i32_e32 vcc_lo, 31, v8
	s_delay_alu instid0(VALU_DEP_3) | instskip(SKIP_1) | instid1(VALU_DEP_4)
	v_cndmask_b32_e32 v9, 0x7c00, v9, vcc_lo
	v_cmp_gt_i32_e32 vcc_lo, 31, v10
	v_cndmask_b32_e32 v4, 0x7c00, v4, vcc_lo
	v_cmp_eq_u32_e32 vcc_lo, 0x40f, v8
	s_delay_alu instid0(VALU_DEP_4) | instskip(SKIP_1) | instid1(VALU_DEP_2)
	v_cndmask_b32_e32 v2, v9, v2, vcc_lo
	v_cmp_eq_u32_e32 vcc_lo, 0x40f, v10
	v_and_or_b32 v2, 0x8000, v5, v2
	v_cndmask_b32_e32 v4, v4, v6, vcc_lo
	v_add_co_u32 v0, vcc_lo, v0, s14
	v_add_co_ci_u32_e32 v1, vcc_lo, s15, v1, vcc_lo
	s_delay_alu instid0(VALU_DEP_3) | instskip(SKIP_1) | instid1(VALU_DEP_1)
	v_and_or_b32 v4, 0x8000, v7, v4
	v_and_b32_e32 v2, 0xffff, v2
	v_lshl_or_b32 v2, v4, 16, v2
	v_lshrrev_b32_e32 v4, 16, v3
	global_store_b32 v[0:1], v2, off
	global_load_b32 v2, v[68:69], off offset:944
	s_waitcnt vmcnt(0)
	v_lshrrev_b32_e32 v5, 16, v2
	s_delay_alu instid0(VALU_DEP_1) | instskip(SKIP_1) | instid1(VALU_DEP_2)
	v_mul_f16_e32 v6, v4, v5
	v_mul_f16_e32 v5, v3, v5
	v_fmac_f16_e32 v6, v3, v2
	s_delay_alu instid0(VALU_DEP_2) | instskip(NEXT) | instid1(VALU_DEP_2)
	v_fma_f16 v2, v2, v4, -v5
	v_cvt_f32_f16_e32 v3, v6
	s_delay_alu instid0(VALU_DEP_2) | instskip(NEXT) | instid1(VALU_DEP_2)
	v_cvt_f32_f16_e32 v4, v2
	v_cvt_f64_f32_e32 v[2:3], v3
	s_delay_alu instid0(VALU_DEP_2) | instskip(NEXT) | instid1(VALU_DEP_2)
	v_cvt_f64_f32_e32 v[4:5], v4
	v_mul_f64 v[2:3], v[2:3], s[10:11]
	s_delay_alu instid0(VALU_DEP_2) | instskip(NEXT) | instid1(VALU_DEP_2)
	v_mul_f64 v[4:5], v[4:5], s[10:11]
	v_and_or_b32 v2, 0x1ff, v3, v2
	s_delay_alu instid0(VALU_DEP_2)
	v_and_or_b32 v4, 0x1ff, v5, v4
	v_lshrrev_b32_e32 v6, 8, v3
	v_bfe_u32 v7, v3, 20, 11
	v_lshrrev_b32_e32 v8, 8, v5
	v_cmp_ne_u32_e32 vcc_lo, 0, v2
	v_bfe_u32 v9, v5, 20, 11
	v_lshrrev_b32_e32 v3, 16, v3
	v_sub_nc_u32_e32 v10, 0x3f1, v7
	v_add_nc_u32_e32 v7, 0xfffffc10, v7
	v_cndmask_b32_e64 v2, 0, 1, vcc_lo
	v_cmp_ne_u32_e32 vcc_lo, 0, v4
	v_lshrrev_b32_e32 v5, 16, v5
	s_delay_alu instid0(VALU_DEP_3) | instskip(SKIP_3) | instid1(VALU_DEP_3)
	v_and_or_b32 v2, 0xffe, v6, v2
	v_cndmask_b32_e64 v4, 0, 1, vcc_lo
	v_sub_nc_u32_e32 v6, 0x3f1, v9
	v_add_nc_u32_e32 v9, 0xfffffc10, v9
	v_and_or_b32 v4, 0xffe, v8, v4
	v_med3_i32 v8, v10, 0, 13
	v_or_b32_e32 v10, 0x1000, v2
	v_med3_i32 v6, v6, 0, 13
	s_delay_alu instid0(VALU_DEP_4) | instskip(NEXT) | instid1(VALU_DEP_3)
	v_or_b32_e32 v11, 0x1000, v4
	v_lshrrev_b32_e32 v12, v8, v10
	s_delay_alu instid0(VALU_DEP_2) | instskip(NEXT) | instid1(VALU_DEP_2)
	v_lshrrev_b32_e32 v13, v6, v11
	v_lshlrev_b32_e32 v8, v8, v12
	s_delay_alu instid0(VALU_DEP_2) | instskip(NEXT) | instid1(VALU_DEP_2)
	v_lshlrev_b32_e32 v6, v6, v13
	v_cmp_ne_u32_e32 vcc_lo, v8, v10
	v_lshl_or_b32 v10, v7, 12, v2
	v_cndmask_b32_e64 v8, 0, 1, vcc_lo
	s_delay_alu instid0(VALU_DEP_4) | instskip(SKIP_1) | instid1(VALU_DEP_3)
	v_cmp_ne_u32_e32 vcc_lo, v6, v11
	v_lshl_or_b32 v11, v9, 12, v4
	v_or_b32_e32 v8, v12, v8
	v_cndmask_b32_e64 v6, 0, 1, vcc_lo
	v_cmp_gt_i32_e32 vcc_lo, 1, v7
	s_delay_alu instid0(VALU_DEP_2) | instskip(NEXT) | instid1(VALU_DEP_4)
	v_or_b32_e32 v6, v13, v6
	v_cndmask_b32_e32 v8, v10, v8, vcc_lo
	v_cmp_gt_i32_e32 vcc_lo, 1, v9
	s_delay_alu instid0(VALU_DEP_2) | instskip(NEXT) | instid1(VALU_DEP_4)
	v_and_b32_e32 v10, 7, v8
	v_cndmask_b32_e32 v6, v11, v6, vcc_lo
	v_cmp_ne_u32_e32 vcc_lo, 0, v2
	v_lshrrev_b32_e32 v8, 2, v8
	s_delay_alu instid0(VALU_DEP_4) | instskip(NEXT) | instid1(VALU_DEP_4)
	v_cmp_eq_u32_e64 s0, 3, v10
	v_and_b32_e32 v11, 7, v6
	v_cndmask_b32_e64 v2, 0, 1, vcc_lo
	v_cmp_ne_u32_e32 vcc_lo, 0, v4
	v_lshrrev_b32_e32 v6, 2, v6
	s_delay_alu instid0(VALU_DEP_4) | instskip(SKIP_4) | instid1(VALU_DEP_3)
	v_cmp_lt_i32_e64 s1, 5, v11
	v_cmp_eq_u32_e64 s2, 3, v11
	v_cndmask_b32_e64 v4, 0, 1, vcc_lo
	v_cmp_lt_i32_e32 vcc_lo, 5, v10
	v_lshl_or_b32 v2, v2, 9, 0x7c00
	v_lshl_or_b32 v4, v4, 9, 0x7c00
	s_or_b32 vcc_lo, s0, vcc_lo
	v_add_co_ci_u32_e32 v8, vcc_lo, 0, v8, vcc_lo
	s_or_b32 vcc_lo, s2, s1
	v_add_co_ci_u32_e32 v6, vcc_lo, 0, v6, vcc_lo
	v_cmp_gt_i32_e32 vcc_lo, 31, v7
	s_delay_alu instid0(VALU_DEP_3) | instskip(SKIP_1) | instid1(VALU_DEP_4)
	v_cndmask_b32_e32 v8, 0x7c00, v8, vcc_lo
	v_cmp_gt_i32_e32 vcc_lo, 31, v9
	v_cndmask_b32_e32 v6, 0x7c00, v6, vcc_lo
	v_cmp_eq_u32_e32 vcc_lo, 0x40f, v7
	s_delay_alu instid0(VALU_DEP_4) | instskip(SKIP_1) | instid1(VALU_DEP_2)
	v_cndmask_b32_e32 v2, v8, v2, vcc_lo
	v_cmp_eq_u32_e32 vcc_lo, 0x40f, v9
	v_and_or_b32 v2, 0x8000, v3, v2
	v_cndmask_b32_e32 v4, v6, v4, vcc_lo
	v_add_co_u32 v0, vcc_lo, v0, s14
	v_add_co_ci_u32_e32 v1, vcc_lo, s15, v1, vcc_lo
	s_delay_alu instid0(VALU_DEP_3) | instskip(SKIP_1) | instid1(VALU_DEP_1)
	v_and_or_b32 v3, 0x8000, v5, v4
	v_and_b32_e32 v2, 0xffff, v2
	v_lshl_or_b32 v2, v3, 16, v2
	global_store_b32 v[0:1], v2, off
	global_load_b32 v4, v[68:69], off offset:1808
	v_add_nc_u32_e32 v2, 0x1700, v115
	ds_load_2addr_b32 v[2:3], v2 offset0:4 offset1:220
	s_waitcnt lgkmcnt(0)
	v_lshrrev_b32_e32 v5, 16, v2
	s_waitcnt vmcnt(0)
	v_lshrrev_b32_e32 v6, 16, v4
	s_delay_alu instid0(VALU_DEP_1) | instskip(SKIP_1) | instid1(VALU_DEP_2)
	v_mul_f16_e32 v7, v5, v6
	v_mul_f16_e32 v6, v2, v6
	v_fmac_f16_e32 v7, v2, v4
	s_delay_alu instid0(VALU_DEP_2) | instskip(NEXT) | instid1(VALU_DEP_2)
	v_fma_f16 v2, v4, v5, -v6
	v_cvt_f32_f16_e32 v4, v7
	s_delay_alu instid0(VALU_DEP_2) | instskip(NEXT) | instid1(VALU_DEP_2)
	v_cvt_f32_f16_e32 v2, v2
	v_cvt_f64_f32_e32 v[4:5], v4
	s_delay_alu instid0(VALU_DEP_2) | instskip(NEXT) | instid1(VALU_DEP_2)
	v_cvt_f64_f32_e32 v[6:7], v2
	v_mul_f64 v[4:5], v[4:5], s[10:11]
	s_delay_alu instid0(VALU_DEP_2) | instskip(NEXT) | instid1(VALU_DEP_2)
	v_mul_f64 v[6:7], v[6:7], s[10:11]
	v_and_or_b32 v2, 0x1ff, v5, v4
	s_delay_alu instid0(VALU_DEP_2)
	v_and_or_b32 v6, 0x1ff, v7, v6
	v_lshrrev_b32_e32 v4, 8, v5
	v_bfe_u32 v8, v5, 20, 11
	v_lshrrev_b32_e32 v9, 8, v7
	v_cmp_ne_u32_e32 vcc_lo, 0, v2
	v_bfe_u32 v10, v7, 20, 11
	v_lshrrev_b32_e32 v5, 16, v5
	v_sub_nc_u32_e32 v11, 0x3f1, v8
	v_add_nc_u32_e32 v8, 0xfffffc10, v8
	v_cndmask_b32_e64 v2, 0, 1, vcc_lo
	v_cmp_ne_u32_e32 vcc_lo, 0, v6
	v_lshrrev_b32_e32 v7, 16, v7
	s_delay_alu instid0(VALU_DEP_3) | instskip(SKIP_3) | instid1(VALU_DEP_3)
	v_and_or_b32 v2, 0xffe, v4, v2
	v_cndmask_b32_e64 v6, 0, 1, vcc_lo
	v_sub_nc_u32_e32 v4, 0x3f1, v10
	v_add_nc_u32_e32 v10, 0xfffffc10, v10
	v_and_or_b32 v6, 0xffe, v9, v6
	v_med3_i32 v9, v11, 0, 13
	v_or_b32_e32 v11, 0x1000, v2
	v_med3_i32 v4, v4, 0, 13
	s_delay_alu instid0(VALU_DEP_4) | instskip(NEXT) | instid1(VALU_DEP_3)
	v_or_b32_e32 v12, 0x1000, v6
	v_lshrrev_b32_e32 v13, v9, v11
	s_delay_alu instid0(VALU_DEP_2) | instskip(NEXT) | instid1(VALU_DEP_2)
	v_lshrrev_b32_e32 v14, v4, v12
	v_lshlrev_b32_e32 v9, v9, v13
	s_delay_alu instid0(VALU_DEP_2) | instskip(NEXT) | instid1(VALU_DEP_2)
	v_lshlrev_b32_e32 v4, v4, v14
	v_cmp_ne_u32_e32 vcc_lo, v9, v11
	v_lshl_or_b32 v11, v8, 12, v2
	v_cndmask_b32_e64 v9, 0, 1, vcc_lo
	s_delay_alu instid0(VALU_DEP_4) | instskip(SKIP_1) | instid1(VALU_DEP_3)
	v_cmp_ne_u32_e32 vcc_lo, v4, v12
	v_lshl_or_b32 v12, v10, 12, v6
	v_or_b32_e32 v9, v13, v9
	v_cndmask_b32_e64 v4, 0, 1, vcc_lo
	v_cmp_gt_i32_e32 vcc_lo, 1, v8
	s_delay_alu instid0(VALU_DEP_2) | instskip(NEXT) | instid1(VALU_DEP_4)
	v_or_b32_e32 v4, v14, v4
	v_cndmask_b32_e32 v9, v11, v9, vcc_lo
	v_cmp_gt_i32_e32 vcc_lo, 1, v10
	s_delay_alu instid0(VALU_DEP_2) | instskip(SKIP_2) | instid1(VALU_DEP_3)
	v_dual_cndmask_b32 v4, v12, v4 :: v_dual_and_b32 v11, 7, v9
	v_cmp_ne_u32_e32 vcc_lo, 0, v2
	v_lshrrev_b32_e32 v9, 2, v9
	v_cmp_eq_u32_e64 s0, 3, v11
	s_delay_alu instid0(VALU_DEP_4) | instskip(SKIP_3) | instid1(VALU_DEP_4)
	v_and_b32_e32 v12, 7, v4
	v_cndmask_b32_e64 v2, 0, 1, vcc_lo
	v_cmp_ne_u32_e32 vcc_lo, 0, v6
	v_lshrrev_b32_e32 v4, 2, v4
	v_cmp_lt_i32_e64 s1, 5, v12
	v_cmp_eq_u32_e64 s2, 3, v12
	v_cndmask_b32_e64 v6, 0, 1, vcc_lo
	v_cmp_lt_i32_e32 vcc_lo, 5, v11
	v_lshl_or_b32 v2, v2, 9, 0x7c00
	s_delay_alu instid0(VALU_DEP_3)
	v_lshl_or_b32 v6, v6, 9, 0x7c00
	s_or_b32 vcc_lo, s0, vcc_lo
	v_add_co_ci_u32_e32 v9, vcc_lo, 0, v9, vcc_lo
	s_or_b32 vcc_lo, s2, s1
	v_add_co_ci_u32_e32 v4, vcc_lo, 0, v4, vcc_lo
	v_cmp_gt_i32_e32 vcc_lo, 31, v8
	s_delay_alu instid0(VALU_DEP_3) | instskip(SKIP_1) | instid1(VALU_DEP_4)
	v_cndmask_b32_e32 v9, 0x7c00, v9, vcc_lo
	v_cmp_gt_i32_e32 vcc_lo, 31, v10
	v_cndmask_b32_e32 v4, 0x7c00, v4, vcc_lo
	v_cmp_eq_u32_e32 vcc_lo, 0x40f, v8
	s_delay_alu instid0(VALU_DEP_4) | instskip(SKIP_1) | instid1(VALU_DEP_2)
	v_cndmask_b32_e32 v2, v9, v2, vcc_lo
	v_cmp_eq_u32_e32 vcc_lo, 0x40f, v10
	v_and_or_b32 v2, 0x8000, v5, v2
	v_cndmask_b32_e32 v4, v4, v6, vcc_lo
	v_add_co_u32 v0, vcc_lo, v0, s14
	v_add_co_ci_u32_e32 v1, vcc_lo, s15, v1, vcc_lo
	s_delay_alu instid0(VALU_DEP_3) | instskip(SKIP_1) | instid1(VALU_DEP_1)
	v_and_or_b32 v4, 0x8000, v7, v4
	v_and_b32_e32 v2, 0xffff, v2
	v_lshl_or_b32 v2, v4, 16, v2
	v_lshrrev_b32_e32 v4, 16, v3
	global_store_b32 v[0:1], v2, off
	global_load_b32 v2, v[68:69], off offset:2672
	s_waitcnt vmcnt(0)
	v_lshrrev_b32_e32 v5, 16, v2
	s_delay_alu instid0(VALU_DEP_1) | instskip(SKIP_1) | instid1(VALU_DEP_2)
	v_mul_f16_e32 v6, v4, v5
	v_mul_f16_e32 v5, v3, v5
	v_fmac_f16_e32 v6, v3, v2
	s_delay_alu instid0(VALU_DEP_2) | instskip(NEXT) | instid1(VALU_DEP_2)
	v_fma_f16 v2, v2, v4, -v5
	v_cvt_f32_f16_e32 v3, v6
	s_delay_alu instid0(VALU_DEP_2) | instskip(NEXT) | instid1(VALU_DEP_2)
	v_cvt_f32_f16_e32 v4, v2
	v_cvt_f64_f32_e32 v[2:3], v3
	s_delay_alu instid0(VALU_DEP_2) | instskip(NEXT) | instid1(VALU_DEP_2)
	v_cvt_f64_f32_e32 v[4:5], v4
	v_mul_f64 v[2:3], v[2:3], s[10:11]
	s_delay_alu instid0(VALU_DEP_2) | instskip(NEXT) | instid1(VALU_DEP_2)
	v_mul_f64 v[4:5], v[4:5], s[10:11]
	v_and_or_b32 v2, 0x1ff, v3, v2
	s_delay_alu instid0(VALU_DEP_2)
	v_and_or_b32 v4, 0x1ff, v5, v4
	v_lshrrev_b32_e32 v6, 8, v3
	v_bfe_u32 v7, v3, 20, 11
	v_lshrrev_b32_e32 v8, 8, v5
	v_cmp_ne_u32_e32 vcc_lo, 0, v2
	v_bfe_u32 v9, v5, 20, 11
	v_lshrrev_b32_e32 v3, 16, v3
	v_sub_nc_u32_e32 v10, 0x3f1, v7
	v_add_nc_u32_e32 v7, 0xfffffc10, v7
	v_cndmask_b32_e64 v2, 0, 1, vcc_lo
	v_cmp_ne_u32_e32 vcc_lo, 0, v4
	v_lshrrev_b32_e32 v5, 16, v5
	s_delay_alu instid0(VALU_DEP_3) | instskip(SKIP_3) | instid1(VALU_DEP_3)
	v_and_or_b32 v2, 0xffe, v6, v2
	v_cndmask_b32_e64 v4, 0, 1, vcc_lo
	v_sub_nc_u32_e32 v6, 0x3f1, v9
	v_add_nc_u32_e32 v9, 0xfffffc10, v9
	v_and_or_b32 v4, 0xffe, v8, v4
	v_med3_i32 v8, v10, 0, 13
	v_or_b32_e32 v10, 0x1000, v2
	v_med3_i32 v6, v6, 0, 13
	s_delay_alu instid0(VALU_DEP_4) | instskip(NEXT) | instid1(VALU_DEP_3)
	v_or_b32_e32 v11, 0x1000, v4
	v_lshrrev_b32_e32 v12, v8, v10
	s_delay_alu instid0(VALU_DEP_2) | instskip(NEXT) | instid1(VALU_DEP_2)
	v_lshrrev_b32_e32 v13, v6, v11
	v_lshlrev_b32_e32 v8, v8, v12
	s_delay_alu instid0(VALU_DEP_2) | instskip(NEXT) | instid1(VALU_DEP_2)
	v_lshlrev_b32_e32 v6, v6, v13
	v_cmp_ne_u32_e32 vcc_lo, v8, v10
	v_lshl_or_b32 v10, v7, 12, v2
	v_cndmask_b32_e64 v8, 0, 1, vcc_lo
	s_delay_alu instid0(VALU_DEP_4) | instskip(SKIP_1) | instid1(VALU_DEP_3)
	v_cmp_ne_u32_e32 vcc_lo, v6, v11
	v_lshl_or_b32 v11, v9, 12, v4
	v_or_b32_e32 v8, v12, v8
	v_cndmask_b32_e64 v6, 0, 1, vcc_lo
	v_cmp_gt_i32_e32 vcc_lo, 1, v7
	s_delay_alu instid0(VALU_DEP_2) | instskip(NEXT) | instid1(VALU_DEP_4)
	v_or_b32_e32 v6, v13, v6
	v_cndmask_b32_e32 v8, v10, v8, vcc_lo
	v_cmp_gt_i32_e32 vcc_lo, 1, v9
	s_delay_alu instid0(VALU_DEP_2) | instskip(NEXT) | instid1(VALU_DEP_4)
	v_and_b32_e32 v10, 7, v8
	v_cndmask_b32_e32 v6, v11, v6, vcc_lo
	v_cmp_ne_u32_e32 vcc_lo, 0, v2
	v_lshrrev_b32_e32 v8, 2, v8
	s_delay_alu instid0(VALU_DEP_4) | instskip(NEXT) | instid1(VALU_DEP_4)
	v_cmp_eq_u32_e64 s0, 3, v10
	v_and_b32_e32 v11, 7, v6
	v_cndmask_b32_e64 v2, 0, 1, vcc_lo
	v_cmp_ne_u32_e32 vcc_lo, 0, v4
	v_lshrrev_b32_e32 v6, 2, v6
	s_delay_alu instid0(VALU_DEP_4) | instskip(SKIP_4) | instid1(VALU_DEP_3)
	v_cmp_lt_i32_e64 s1, 5, v11
	v_cmp_eq_u32_e64 s2, 3, v11
	v_cndmask_b32_e64 v4, 0, 1, vcc_lo
	v_cmp_lt_i32_e32 vcc_lo, 5, v10
	v_lshl_or_b32 v2, v2, 9, 0x7c00
	v_lshl_or_b32 v4, v4, 9, 0x7c00
	s_or_b32 vcc_lo, s0, vcc_lo
	v_add_co_ci_u32_e32 v8, vcc_lo, 0, v8, vcc_lo
	s_or_b32 vcc_lo, s2, s1
	v_add_co_ci_u32_e32 v6, vcc_lo, 0, v6, vcc_lo
	v_cmp_gt_i32_e32 vcc_lo, 31, v7
	s_delay_alu instid0(VALU_DEP_3) | instskip(SKIP_1) | instid1(VALU_DEP_4)
	v_cndmask_b32_e32 v8, 0x7c00, v8, vcc_lo
	v_cmp_gt_i32_e32 vcc_lo, 31, v9
	v_cndmask_b32_e32 v6, 0x7c00, v6, vcc_lo
	v_cmp_eq_u32_e32 vcc_lo, 0x40f, v7
	s_delay_alu instid0(VALU_DEP_4) | instskip(SKIP_1) | instid1(VALU_DEP_2)
	v_cndmask_b32_e32 v2, v8, v2, vcc_lo
	v_cmp_eq_u32_e32 vcc_lo, 0x40f, v9
	v_and_or_b32 v2, 0x8000, v3, v2
	v_cndmask_b32_e32 v4, v6, v4, vcc_lo
	v_add_co_u32 v0, vcc_lo, v0, s14
	v_add_co_ci_u32_e32 v1, vcc_lo, s15, v1, vcc_lo
	s_delay_alu instid0(VALU_DEP_3) | instskip(SKIP_1) | instid1(VALU_DEP_1)
	v_and_or_b32 v3, 0x8000, v5, v4
	v_and_b32_e32 v2, 0xffff, v2
	v_lshl_or_b32 v2, v3, 16, v2
	global_store_b32 v[0:1], v2, off
	global_load_b32 v4, v[68:69], off offset:3536
	v_add_nc_u32_e32 v2, 0x1d80, v115
	ds_load_2addr_b32 v[2:3], v2 offset0:20 offset1:236
	s_waitcnt lgkmcnt(0)
	v_lshrrev_b32_e32 v5, 16, v2
	s_waitcnt vmcnt(0)
	v_lshrrev_b32_e32 v6, 16, v4
	s_delay_alu instid0(VALU_DEP_1) | instskip(SKIP_1) | instid1(VALU_DEP_2)
	v_mul_f16_e32 v7, v5, v6
	v_mul_f16_e32 v6, v2, v6
	v_fmac_f16_e32 v7, v2, v4
	s_delay_alu instid0(VALU_DEP_2) | instskip(NEXT) | instid1(VALU_DEP_2)
	v_fma_f16 v2, v4, v5, -v6
	v_cvt_f32_f16_e32 v4, v7
	s_delay_alu instid0(VALU_DEP_2) | instskip(NEXT) | instid1(VALU_DEP_2)
	v_cvt_f32_f16_e32 v2, v2
	v_cvt_f64_f32_e32 v[4:5], v4
	s_delay_alu instid0(VALU_DEP_2) | instskip(NEXT) | instid1(VALU_DEP_2)
	v_cvt_f64_f32_e32 v[6:7], v2
	v_mul_f64 v[4:5], v[4:5], s[10:11]
	s_delay_alu instid0(VALU_DEP_2) | instskip(NEXT) | instid1(VALU_DEP_2)
	v_mul_f64 v[6:7], v[6:7], s[10:11]
	v_and_or_b32 v2, 0x1ff, v5, v4
	s_delay_alu instid0(VALU_DEP_2)
	v_and_or_b32 v6, 0x1ff, v7, v6
	v_lshrrev_b32_e32 v4, 8, v5
	v_bfe_u32 v8, v5, 20, 11
	v_lshrrev_b32_e32 v9, 8, v7
	v_cmp_ne_u32_e32 vcc_lo, 0, v2
	v_bfe_u32 v10, v7, 20, 11
	v_lshrrev_b32_e32 v5, 16, v5
	v_sub_nc_u32_e32 v11, 0x3f1, v8
	v_add_nc_u32_e32 v8, 0xfffffc10, v8
	v_cndmask_b32_e64 v2, 0, 1, vcc_lo
	v_cmp_ne_u32_e32 vcc_lo, 0, v6
	v_lshrrev_b32_e32 v7, 16, v7
	s_delay_alu instid0(VALU_DEP_3) | instskip(SKIP_3) | instid1(VALU_DEP_3)
	v_and_or_b32 v2, 0xffe, v4, v2
	v_cndmask_b32_e64 v6, 0, 1, vcc_lo
	v_sub_nc_u32_e32 v4, 0x3f1, v10
	v_add_nc_u32_e32 v10, 0xfffffc10, v10
	v_and_or_b32 v6, 0xffe, v9, v6
	v_med3_i32 v9, v11, 0, 13
	v_or_b32_e32 v11, 0x1000, v2
	v_med3_i32 v4, v4, 0, 13
	s_delay_alu instid0(VALU_DEP_4) | instskip(NEXT) | instid1(VALU_DEP_3)
	v_or_b32_e32 v12, 0x1000, v6
	v_lshrrev_b32_e32 v13, v9, v11
	s_delay_alu instid0(VALU_DEP_2) | instskip(NEXT) | instid1(VALU_DEP_2)
	v_lshrrev_b32_e32 v14, v4, v12
	v_lshlrev_b32_e32 v9, v9, v13
	s_delay_alu instid0(VALU_DEP_2) | instskip(NEXT) | instid1(VALU_DEP_2)
	v_lshlrev_b32_e32 v4, v4, v14
	v_cmp_ne_u32_e32 vcc_lo, v9, v11
	v_lshl_or_b32 v11, v8, 12, v2
	v_cndmask_b32_e64 v9, 0, 1, vcc_lo
	s_delay_alu instid0(VALU_DEP_4) | instskip(SKIP_1) | instid1(VALU_DEP_3)
	v_cmp_ne_u32_e32 vcc_lo, v4, v12
	v_lshl_or_b32 v12, v10, 12, v6
	v_or_b32_e32 v9, v13, v9
	v_cndmask_b32_e64 v4, 0, 1, vcc_lo
	v_cmp_gt_i32_e32 vcc_lo, 1, v8
	s_delay_alu instid0(VALU_DEP_2) | instskip(NEXT) | instid1(VALU_DEP_4)
	v_or_b32_e32 v4, v14, v4
	v_cndmask_b32_e32 v9, v11, v9, vcc_lo
	v_cmp_gt_i32_e32 vcc_lo, 1, v10
	s_delay_alu instid0(VALU_DEP_2) | instskip(SKIP_2) | instid1(VALU_DEP_3)
	v_dual_cndmask_b32 v4, v12, v4 :: v_dual_and_b32 v11, 7, v9
	v_cmp_ne_u32_e32 vcc_lo, 0, v2
	v_lshrrev_b32_e32 v9, 2, v9
	v_cmp_eq_u32_e64 s0, 3, v11
	s_delay_alu instid0(VALU_DEP_4) | instskip(SKIP_3) | instid1(VALU_DEP_4)
	v_and_b32_e32 v12, 7, v4
	v_cndmask_b32_e64 v2, 0, 1, vcc_lo
	v_cmp_ne_u32_e32 vcc_lo, 0, v6
	v_lshrrev_b32_e32 v4, 2, v4
	v_cmp_lt_i32_e64 s1, 5, v12
	v_cmp_eq_u32_e64 s2, 3, v12
	v_cndmask_b32_e64 v6, 0, 1, vcc_lo
	v_cmp_lt_i32_e32 vcc_lo, 5, v11
	v_lshl_or_b32 v2, v2, 9, 0x7c00
	s_delay_alu instid0(VALU_DEP_3)
	v_lshl_or_b32 v6, v6, 9, 0x7c00
	s_or_b32 vcc_lo, s0, vcc_lo
	v_add_co_ci_u32_e32 v9, vcc_lo, 0, v9, vcc_lo
	s_or_b32 vcc_lo, s2, s1
	v_add_co_ci_u32_e32 v4, vcc_lo, 0, v4, vcc_lo
	v_cmp_gt_i32_e32 vcc_lo, 31, v8
	s_delay_alu instid0(VALU_DEP_3) | instskip(SKIP_1) | instid1(VALU_DEP_4)
	v_cndmask_b32_e32 v9, 0x7c00, v9, vcc_lo
	v_cmp_gt_i32_e32 vcc_lo, 31, v10
	v_cndmask_b32_e32 v4, 0x7c00, v4, vcc_lo
	v_cmp_eq_u32_e32 vcc_lo, 0x40f, v8
	s_delay_alu instid0(VALU_DEP_4) | instskip(SKIP_1) | instid1(VALU_DEP_2)
	v_cndmask_b32_e32 v2, v9, v2, vcc_lo
	v_cmp_eq_u32_e32 vcc_lo, 0x40f, v10
	v_and_or_b32 v2, 0x8000, v5, v2
	v_cndmask_b32_e32 v4, v4, v6, vcc_lo
	v_add_co_u32 v0, vcc_lo, v0, s14
	v_add_co_ci_u32_e32 v1, vcc_lo, s15, v1, vcc_lo
	s_delay_alu instid0(VALU_DEP_3) | instskip(SKIP_1) | instid1(VALU_DEP_1)
	v_and_or_b32 v4, 0x8000, v7, v4
	v_and_b32_e32 v2, 0xffff, v2
	v_lshl_or_b32 v2, v4, 16, v2
	scratch_load_b64 v[4:5], off, off       ; 8-byte Folded Reload
	global_store_b32 v[0:1], v2, off
	s_waitcnt vmcnt(0)
	global_load_b32 v2, v[4:5], off offset:304
	v_lshrrev_b32_e32 v4, 16, v3
	s_waitcnt vmcnt(0)
	v_lshrrev_b32_e32 v5, 16, v2
	s_delay_alu instid0(VALU_DEP_1) | instskip(SKIP_1) | instid1(VALU_DEP_2)
	v_mul_f16_e32 v6, v4, v5
	v_mul_f16_e32 v5, v3, v5
	v_fmac_f16_e32 v6, v3, v2
	s_delay_alu instid0(VALU_DEP_2) | instskip(NEXT) | instid1(VALU_DEP_2)
	v_fma_f16 v2, v2, v4, -v5
	v_cvt_f32_f16_e32 v3, v6
	s_delay_alu instid0(VALU_DEP_2) | instskip(NEXT) | instid1(VALU_DEP_2)
	v_cvt_f32_f16_e32 v4, v2
	v_cvt_f64_f32_e32 v[2:3], v3
	s_delay_alu instid0(VALU_DEP_2) | instskip(NEXT) | instid1(VALU_DEP_2)
	v_cvt_f64_f32_e32 v[4:5], v4
	v_mul_f64 v[2:3], v[2:3], s[10:11]
	s_delay_alu instid0(VALU_DEP_2) | instskip(NEXT) | instid1(VALU_DEP_2)
	v_mul_f64 v[4:5], v[4:5], s[10:11]
	v_and_or_b32 v2, 0x1ff, v3, v2
	s_delay_alu instid0(VALU_DEP_2)
	v_and_or_b32 v4, 0x1ff, v5, v4
	v_lshrrev_b32_e32 v6, 8, v3
	v_bfe_u32 v7, v3, 20, 11
	v_lshrrev_b32_e32 v8, 8, v5
	v_cmp_ne_u32_e32 vcc_lo, 0, v2
	v_bfe_u32 v9, v5, 20, 11
	v_lshrrev_b32_e32 v3, 16, v3
	v_sub_nc_u32_e32 v10, 0x3f1, v7
	v_add_nc_u32_e32 v7, 0xfffffc10, v7
	v_cndmask_b32_e64 v2, 0, 1, vcc_lo
	v_cmp_ne_u32_e32 vcc_lo, 0, v4
	v_lshrrev_b32_e32 v5, 16, v5
	s_delay_alu instid0(VALU_DEP_3) | instskip(SKIP_3) | instid1(VALU_DEP_3)
	v_and_or_b32 v2, 0xffe, v6, v2
	v_cndmask_b32_e64 v4, 0, 1, vcc_lo
	v_sub_nc_u32_e32 v6, 0x3f1, v9
	v_add_nc_u32_e32 v9, 0xfffffc10, v9
	v_and_or_b32 v4, 0xffe, v8, v4
	v_med3_i32 v8, v10, 0, 13
	v_or_b32_e32 v10, 0x1000, v2
	v_med3_i32 v6, v6, 0, 13
	s_delay_alu instid0(VALU_DEP_4) | instskip(NEXT) | instid1(VALU_DEP_3)
	v_or_b32_e32 v11, 0x1000, v4
	v_lshrrev_b32_e32 v12, v8, v10
	s_delay_alu instid0(VALU_DEP_2) | instskip(NEXT) | instid1(VALU_DEP_2)
	v_lshrrev_b32_e32 v13, v6, v11
	v_lshlrev_b32_e32 v8, v8, v12
	s_delay_alu instid0(VALU_DEP_2) | instskip(NEXT) | instid1(VALU_DEP_2)
	v_lshlrev_b32_e32 v6, v6, v13
	v_cmp_ne_u32_e32 vcc_lo, v8, v10
	v_lshl_or_b32 v10, v7, 12, v2
	v_cndmask_b32_e64 v8, 0, 1, vcc_lo
	s_delay_alu instid0(VALU_DEP_4) | instskip(SKIP_1) | instid1(VALU_DEP_3)
	v_cmp_ne_u32_e32 vcc_lo, v6, v11
	v_lshl_or_b32 v11, v9, 12, v4
	v_or_b32_e32 v8, v12, v8
	v_cndmask_b32_e64 v6, 0, 1, vcc_lo
	v_cmp_gt_i32_e32 vcc_lo, 1, v7
	s_delay_alu instid0(VALU_DEP_2) | instskip(NEXT) | instid1(VALU_DEP_4)
	v_or_b32_e32 v6, v13, v6
	v_cndmask_b32_e32 v8, v10, v8, vcc_lo
	v_cmp_gt_i32_e32 vcc_lo, 1, v9
	s_delay_alu instid0(VALU_DEP_2) | instskip(NEXT) | instid1(VALU_DEP_4)
	v_and_b32_e32 v10, 7, v8
	v_cndmask_b32_e32 v6, v11, v6, vcc_lo
	v_cmp_ne_u32_e32 vcc_lo, 0, v2
	v_lshrrev_b32_e32 v8, 2, v8
	s_delay_alu instid0(VALU_DEP_4) | instskip(NEXT) | instid1(VALU_DEP_4)
	v_cmp_eq_u32_e64 s0, 3, v10
	v_and_b32_e32 v11, 7, v6
	v_cndmask_b32_e64 v2, 0, 1, vcc_lo
	v_cmp_ne_u32_e32 vcc_lo, 0, v4
	v_lshrrev_b32_e32 v6, 2, v6
	s_delay_alu instid0(VALU_DEP_4) | instskip(SKIP_4) | instid1(VALU_DEP_3)
	v_cmp_lt_i32_e64 s1, 5, v11
	v_cmp_eq_u32_e64 s2, 3, v11
	v_cndmask_b32_e64 v4, 0, 1, vcc_lo
	v_cmp_lt_i32_e32 vcc_lo, 5, v10
	v_lshl_or_b32 v2, v2, 9, 0x7c00
	v_lshl_or_b32 v4, v4, 9, 0x7c00
	s_or_b32 vcc_lo, s0, vcc_lo
	v_add_co_ci_u32_e32 v8, vcc_lo, 0, v8, vcc_lo
	s_or_b32 vcc_lo, s2, s1
	v_add_co_ci_u32_e32 v6, vcc_lo, 0, v6, vcc_lo
	v_cmp_gt_i32_e32 vcc_lo, 31, v7
	s_delay_alu instid0(VALU_DEP_3) | instskip(SKIP_1) | instid1(VALU_DEP_4)
	v_cndmask_b32_e32 v8, 0x7c00, v8, vcc_lo
	v_cmp_gt_i32_e32 vcc_lo, 31, v9
	v_cndmask_b32_e32 v6, 0x7c00, v6, vcc_lo
	v_cmp_eq_u32_e32 vcc_lo, 0x40f, v7
	s_delay_alu instid0(VALU_DEP_4) | instskip(SKIP_1) | instid1(VALU_DEP_2)
	v_cndmask_b32_e32 v2, v8, v2, vcc_lo
	v_cmp_eq_u32_e32 vcc_lo, 0x40f, v9
	v_and_or_b32 v2, 0x8000, v3, v2
	v_cndmask_b32_e32 v4, v6, v4, vcc_lo
	v_add_co_u32 v0, vcc_lo, v0, s14
	v_add_co_ci_u32_e32 v1, vcc_lo, s15, v1, vcc_lo
	s_delay_alu instid0(VALU_DEP_3) | instskip(SKIP_1) | instid1(VALU_DEP_1)
	v_and_or_b32 v3, 0x8000, v5, v4
	v_and_b32_e32 v2, 0xffff, v2
	v_lshl_or_b32 v2, v3, 16, v2
	global_store_b32 v[0:1], v2, off
.LBB0_15:
	s_nop 0
	s_sendmsg sendmsg(MSG_DEALLOC_VGPRS)
	s_endpgm
	.section	.rodata,"a",@progbits
	.p2align	6, 0x0
	.amdhsa_kernel bluestein_single_fwd_len2160_dim1_half_op_CI_CI
		.amdhsa_group_segment_fixed_size 8640
		.amdhsa_private_segment_fixed_size 208
		.amdhsa_kernarg_size 104
		.amdhsa_user_sgpr_count 15
		.amdhsa_user_sgpr_dispatch_ptr 0
		.amdhsa_user_sgpr_queue_ptr 0
		.amdhsa_user_sgpr_kernarg_segment_ptr 1
		.amdhsa_user_sgpr_dispatch_id 0
		.amdhsa_user_sgpr_private_segment_size 0
		.amdhsa_wavefront_size32 1
		.amdhsa_uses_dynamic_stack 0
		.amdhsa_enable_private_segment 1
		.amdhsa_system_sgpr_workgroup_id_x 1
		.amdhsa_system_sgpr_workgroup_id_y 0
		.amdhsa_system_sgpr_workgroup_id_z 0
		.amdhsa_system_sgpr_workgroup_info 0
		.amdhsa_system_vgpr_workitem_id 0
		.amdhsa_next_free_vgpr 256
		.amdhsa_next_free_sgpr 18
		.amdhsa_reserve_vcc 1
		.amdhsa_float_round_mode_32 0
		.amdhsa_float_round_mode_16_64 0
		.amdhsa_float_denorm_mode_32 3
		.amdhsa_float_denorm_mode_16_64 3
		.amdhsa_dx10_clamp 1
		.amdhsa_ieee_mode 1
		.amdhsa_fp16_overflow 0
		.amdhsa_workgroup_processor_mode 1
		.amdhsa_memory_ordered 1
		.amdhsa_forward_progress 0
		.amdhsa_shared_vgpr_count 0
		.amdhsa_exception_fp_ieee_invalid_op 0
		.amdhsa_exception_fp_denorm_src 0
		.amdhsa_exception_fp_ieee_div_zero 0
		.amdhsa_exception_fp_ieee_overflow 0
		.amdhsa_exception_fp_ieee_underflow 0
		.amdhsa_exception_fp_ieee_inexact 0
		.amdhsa_exception_int_div_zero 0
	.end_amdhsa_kernel
	.text
.Lfunc_end0:
	.size	bluestein_single_fwd_len2160_dim1_half_op_CI_CI, .Lfunc_end0-bluestein_single_fwd_len2160_dim1_half_op_CI_CI
                                        ; -- End function
	.section	.AMDGPU.csdata,"",@progbits
; Kernel info:
; codeLenInByte = 67932
; NumSgprs: 20
; NumVgprs: 256
; ScratchSize: 208
; MemoryBound: 0
; FloatMode: 240
; IeeeMode: 1
; LDSByteSize: 8640 bytes/workgroup (compile time only)
; SGPRBlocks: 2
; VGPRBlocks: 31
; NumSGPRsForWavesPerEU: 20
; NumVGPRsForWavesPerEU: 256
; Occupancy: 5
; WaveLimiterHint : 1
; COMPUTE_PGM_RSRC2:SCRATCH_EN: 1
; COMPUTE_PGM_RSRC2:USER_SGPR: 15
; COMPUTE_PGM_RSRC2:TRAP_HANDLER: 0
; COMPUTE_PGM_RSRC2:TGID_X_EN: 1
; COMPUTE_PGM_RSRC2:TGID_Y_EN: 0
; COMPUTE_PGM_RSRC2:TGID_Z_EN: 0
; COMPUTE_PGM_RSRC2:TIDIG_COMP_CNT: 0
	.text
	.p2alignl 7, 3214868480
	.fill 96, 4, 3214868480
	.type	__hip_cuid_a52820e883fc52f2,@object ; @__hip_cuid_a52820e883fc52f2
	.section	.bss,"aw",@nobits
	.globl	__hip_cuid_a52820e883fc52f2
__hip_cuid_a52820e883fc52f2:
	.byte	0                               ; 0x0
	.size	__hip_cuid_a52820e883fc52f2, 1

	.ident	"AMD clang version 19.0.0git (https://github.com/RadeonOpenCompute/llvm-project roc-6.4.0 25133 c7fe45cf4b819c5991fe208aaa96edf142730f1d)"
	.section	".note.GNU-stack","",@progbits
	.addrsig
	.addrsig_sym __hip_cuid_a52820e883fc52f2
	.amdgpu_metadata
---
amdhsa.kernels:
  - .args:
      - .actual_access:  read_only
        .address_space:  global
        .offset:         0
        .size:           8
        .value_kind:     global_buffer
      - .actual_access:  read_only
        .address_space:  global
        .offset:         8
        .size:           8
        .value_kind:     global_buffer
      - .actual_access:  read_only
        .address_space:  global
        .offset:         16
        .size:           8
        .value_kind:     global_buffer
      - .actual_access:  read_only
        .address_space:  global
        .offset:         24
        .size:           8
        .value_kind:     global_buffer
      - .actual_access:  read_only
        .address_space:  global
        .offset:         32
        .size:           8
        .value_kind:     global_buffer
      - .offset:         40
        .size:           8
        .value_kind:     by_value
      - .address_space:  global
        .offset:         48
        .size:           8
        .value_kind:     global_buffer
      - .address_space:  global
        .offset:         56
        .size:           8
        .value_kind:     global_buffer
      - .address_space:  global
        .offset:         64
        .size:           8
        .value_kind:     global_buffer
      - .address_space:  global
        .offset:         72
        .size:           8
        .value_kind:     global_buffer
      - .offset:         80
        .size:           4
        .value_kind:     by_value
      - .address_space:  global
        .offset:         88
        .size:           8
        .value_kind:     global_buffer
      - .address_space:  global
        .offset:         96
        .size:           8
        .value_kind:     global_buffer
    .group_segment_fixed_size: 8640
    .kernarg_segment_align: 8
    .kernarg_segment_size: 104
    .language:       OpenCL C
    .language_version:
      - 2
      - 0
    .max_flat_workgroup_size: 60
    .name:           bluestein_single_fwd_len2160_dim1_half_op_CI_CI
    .private_segment_fixed_size: 208
    .sgpr_count:     20
    .sgpr_spill_count: 0
    .symbol:         bluestein_single_fwd_len2160_dim1_half_op_CI_CI.kd
    .uniform_work_group_size: 1
    .uses_dynamic_stack: false
    .vgpr_count:     256
    .vgpr_spill_count: 51
    .wavefront_size: 32
    .workgroup_processor_mode: 1
amdhsa.target:   amdgcn-amd-amdhsa--gfx1100
amdhsa.version:
  - 1
  - 2
...

	.end_amdgpu_metadata
